;; amdgpu-corpus repo=ROCm/rocFFT kind=compiled arch=gfx906 opt=O3
	.text
	.amdgcn_target "amdgcn-amd-amdhsa--gfx906"
	.amdhsa_code_object_version 6
	.protected	fft_rtc_back_len2002_factors_2_13_7_11_wgs_182_tpt_182_halfLds_dp_ip_CI_unitstride_sbrr_dirReg ; -- Begin function fft_rtc_back_len2002_factors_2_13_7_11_wgs_182_tpt_182_halfLds_dp_ip_CI_unitstride_sbrr_dirReg
	.globl	fft_rtc_back_len2002_factors_2_13_7_11_wgs_182_tpt_182_halfLds_dp_ip_CI_unitstride_sbrr_dirReg
	.p2align	8
	.type	fft_rtc_back_len2002_factors_2_13_7_11_wgs_182_tpt_182_halfLds_dp_ip_CI_unitstride_sbrr_dirReg,@function
fft_rtc_back_len2002_factors_2_13_7_11_wgs_182_tpt_182_halfLds_dp_ip_CI_unitstride_sbrr_dirReg: ; @fft_rtc_back_len2002_factors_2_13_7_11_wgs_182_tpt_182_halfLds_dp_ip_CI_unitstride_sbrr_dirReg
; %bb.0:
	s_load_dwordx2 s[12:13], s[4:5], 0x50
	s_load_dwordx4 s[8:11], s[4:5], 0x0
	s_load_dwordx2 s[2:3], s[4:5], 0x18
	v_mul_u32_u24_e32 v1, 0x169, v0
	v_add_u32_sdwa v5, s6, v1 dst_sel:DWORD dst_unused:UNUSED_PAD src0_sel:DWORD src1_sel:WORD_1
	v_mov_b32_e32 v3, 0
	s_waitcnt lgkmcnt(0)
	v_cmp_lt_u64_e64 s[0:1], s[10:11], 2
	v_mov_b32_e32 v1, 0
	v_mov_b32_e32 v6, v3
	s_and_b64 vcc, exec, s[0:1]
	v_mov_b32_e32 v2, 0
	s_cbranch_vccnz .LBB0_8
; %bb.1:
	s_load_dwordx2 s[0:1], s[4:5], 0x10
	s_add_u32 s6, s2, 8
	s_addc_u32 s7, s3, 0
	v_mov_b32_e32 v1, 0
	v_mov_b32_e32 v2, 0
	s_waitcnt lgkmcnt(0)
	s_add_u32 s14, s0, 8
	s_addc_u32 s15, s1, 0
	s_mov_b64 s[16:17], 1
.LBB0_2:                                ; =>This Inner Loop Header: Depth=1
	s_load_dwordx2 s[18:19], s[14:15], 0x0
                                        ; implicit-def: $vgpr7_vgpr8
	s_waitcnt lgkmcnt(0)
	v_or_b32_e32 v4, s19, v6
	v_cmp_ne_u64_e32 vcc, 0, v[3:4]
	s_and_saveexec_b64 s[0:1], vcc
	s_xor_b64 s[20:21], exec, s[0:1]
	s_cbranch_execz .LBB0_4
; %bb.3:                                ;   in Loop: Header=BB0_2 Depth=1
	v_cvt_f32_u32_e32 v4, s18
	v_cvt_f32_u32_e32 v7, s19
	s_sub_u32 s0, 0, s18
	s_subb_u32 s1, 0, s19
	v_mac_f32_e32 v4, 0x4f800000, v7
	v_rcp_f32_e32 v4, v4
	v_mul_f32_e32 v4, 0x5f7ffffc, v4
	v_mul_f32_e32 v7, 0x2f800000, v4
	v_trunc_f32_e32 v7, v7
	v_mac_f32_e32 v4, 0xcf800000, v7
	v_cvt_u32_f32_e32 v7, v7
	v_cvt_u32_f32_e32 v4, v4
	v_mul_lo_u32 v8, s0, v7
	v_mul_hi_u32 v9, s0, v4
	v_mul_lo_u32 v11, s1, v4
	v_mul_lo_u32 v10, s0, v4
	v_add_u32_e32 v8, v9, v8
	v_add_u32_e32 v8, v8, v11
	v_mul_hi_u32 v9, v4, v10
	v_mul_lo_u32 v11, v4, v8
	v_mul_hi_u32 v13, v4, v8
	v_mul_hi_u32 v12, v7, v10
	v_mul_lo_u32 v10, v7, v10
	v_mul_hi_u32 v14, v7, v8
	v_add_co_u32_e32 v9, vcc, v9, v11
	v_addc_co_u32_e32 v11, vcc, 0, v13, vcc
	v_mul_lo_u32 v8, v7, v8
	v_add_co_u32_e32 v9, vcc, v9, v10
	v_addc_co_u32_e32 v9, vcc, v11, v12, vcc
	v_addc_co_u32_e32 v10, vcc, 0, v14, vcc
	v_add_co_u32_e32 v8, vcc, v9, v8
	v_addc_co_u32_e32 v9, vcc, 0, v10, vcc
	v_add_co_u32_e32 v4, vcc, v4, v8
	v_addc_co_u32_e32 v7, vcc, v7, v9, vcc
	v_mul_lo_u32 v8, s0, v7
	v_mul_hi_u32 v9, s0, v4
	v_mul_lo_u32 v10, s1, v4
	v_mul_lo_u32 v11, s0, v4
	v_add_u32_e32 v8, v9, v8
	v_add_u32_e32 v8, v8, v10
	v_mul_lo_u32 v12, v4, v8
	v_mul_hi_u32 v13, v4, v11
	v_mul_hi_u32 v14, v4, v8
	;; [unrolled: 1-line block ×3, first 2 shown]
	v_mul_lo_u32 v11, v7, v11
	v_mul_hi_u32 v9, v7, v8
	v_add_co_u32_e32 v12, vcc, v13, v12
	v_addc_co_u32_e32 v13, vcc, 0, v14, vcc
	v_mul_lo_u32 v8, v7, v8
	v_add_co_u32_e32 v11, vcc, v12, v11
	v_addc_co_u32_e32 v10, vcc, v13, v10, vcc
	v_addc_co_u32_e32 v9, vcc, 0, v9, vcc
	v_add_co_u32_e32 v8, vcc, v10, v8
	v_addc_co_u32_e32 v9, vcc, 0, v9, vcc
	v_add_co_u32_e32 v4, vcc, v4, v8
	v_addc_co_u32_e32 v9, vcc, v7, v9, vcc
	v_mad_u64_u32 v[7:8], s[0:1], v5, v9, 0
	v_mul_hi_u32 v10, v5, v4
	v_add_co_u32_e32 v11, vcc, v10, v7
	v_addc_co_u32_e32 v12, vcc, 0, v8, vcc
	v_mad_u64_u32 v[7:8], s[0:1], v6, v4, 0
	v_mad_u64_u32 v[9:10], s[0:1], v6, v9, 0
	v_add_co_u32_e32 v4, vcc, v11, v7
	v_addc_co_u32_e32 v4, vcc, v12, v8, vcc
	v_addc_co_u32_e32 v7, vcc, 0, v10, vcc
	v_add_co_u32_e32 v4, vcc, v4, v9
	v_addc_co_u32_e32 v9, vcc, 0, v7, vcc
	v_mul_lo_u32 v10, s19, v4
	v_mul_lo_u32 v11, s18, v9
	v_mad_u64_u32 v[7:8], s[0:1], s18, v4, 0
	v_add3_u32 v8, v8, v11, v10
	v_sub_u32_e32 v10, v6, v8
	v_mov_b32_e32 v11, s19
	v_sub_co_u32_e32 v7, vcc, v5, v7
	v_subb_co_u32_e64 v10, s[0:1], v10, v11, vcc
	v_subrev_co_u32_e64 v11, s[0:1], s18, v7
	v_subbrev_co_u32_e64 v10, s[0:1], 0, v10, s[0:1]
	v_cmp_le_u32_e64 s[0:1], s19, v10
	v_cndmask_b32_e64 v12, 0, -1, s[0:1]
	v_cmp_le_u32_e64 s[0:1], s18, v11
	v_cndmask_b32_e64 v11, 0, -1, s[0:1]
	v_cmp_eq_u32_e64 s[0:1], s19, v10
	v_cndmask_b32_e64 v10, v12, v11, s[0:1]
	v_add_co_u32_e64 v11, s[0:1], 2, v4
	v_addc_co_u32_e64 v12, s[0:1], 0, v9, s[0:1]
	v_add_co_u32_e64 v13, s[0:1], 1, v4
	v_addc_co_u32_e64 v14, s[0:1], 0, v9, s[0:1]
	v_subb_co_u32_e32 v8, vcc, v6, v8, vcc
	v_cmp_ne_u32_e64 s[0:1], 0, v10
	v_cmp_le_u32_e32 vcc, s19, v8
	v_cndmask_b32_e64 v10, v14, v12, s[0:1]
	v_cndmask_b32_e64 v12, 0, -1, vcc
	v_cmp_le_u32_e32 vcc, s18, v7
	v_cndmask_b32_e64 v7, 0, -1, vcc
	v_cmp_eq_u32_e32 vcc, s19, v8
	v_cndmask_b32_e32 v7, v12, v7, vcc
	v_cmp_ne_u32_e32 vcc, 0, v7
	v_cndmask_b32_e64 v7, v13, v11, s[0:1]
	v_cndmask_b32_e32 v8, v9, v10, vcc
	v_cndmask_b32_e32 v7, v4, v7, vcc
.LBB0_4:                                ;   in Loop: Header=BB0_2 Depth=1
	s_andn2_saveexec_b64 s[0:1], s[20:21]
	s_cbranch_execz .LBB0_6
; %bb.5:                                ;   in Loop: Header=BB0_2 Depth=1
	v_cvt_f32_u32_e32 v4, s18
	s_sub_i32 s20, 0, s18
	v_rcp_iflag_f32_e32 v4, v4
	v_mul_f32_e32 v4, 0x4f7ffffe, v4
	v_cvt_u32_f32_e32 v4, v4
	v_mul_lo_u32 v7, s20, v4
	v_mul_hi_u32 v7, v4, v7
	v_add_u32_e32 v4, v4, v7
	v_mul_hi_u32 v4, v5, v4
	v_mul_lo_u32 v7, v4, s18
	v_add_u32_e32 v8, 1, v4
	v_sub_u32_e32 v7, v5, v7
	v_subrev_u32_e32 v9, s18, v7
	v_cmp_le_u32_e32 vcc, s18, v7
	v_cndmask_b32_e32 v7, v7, v9, vcc
	v_cndmask_b32_e32 v4, v4, v8, vcc
	v_add_u32_e32 v8, 1, v4
	v_cmp_le_u32_e32 vcc, s18, v7
	v_cndmask_b32_e32 v7, v4, v8, vcc
	v_mov_b32_e32 v8, v3
.LBB0_6:                                ;   in Loop: Header=BB0_2 Depth=1
	s_or_b64 exec, exec, s[0:1]
	v_mul_lo_u32 v4, v8, s18
	v_mul_lo_u32 v11, v7, s19
	v_mad_u64_u32 v[9:10], s[0:1], v7, s18, 0
	s_load_dwordx2 s[0:1], s[6:7], 0x0
	s_add_u32 s16, s16, 1
	v_add3_u32 v4, v10, v11, v4
	v_sub_co_u32_e32 v5, vcc, v5, v9
	v_subb_co_u32_e32 v4, vcc, v6, v4, vcc
	s_waitcnt lgkmcnt(0)
	v_mul_lo_u32 v4, s0, v4
	v_mul_lo_u32 v6, s1, v5
	v_mad_u64_u32 v[1:2], s[0:1], s0, v5, v[1:2]
	s_addc_u32 s17, s17, 0
	s_add_u32 s6, s6, 8
	v_add3_u32 v2, v6, v2, v4
	v_mov_b32_e32 v4, s10
	v_mov_b32_e32 v5, s11
	s_addc_u32 s7, s7, 0
	v_cmp_ge_u64_e32 vcc, s[16:17], v[4:5]
	s_add_u32 s14, s14, 8
	s_addc_u32 s15, s15, 0
	s_cbranch_vccnz .LBB0_9
; %bb.7:                                ;   in Loop: Header=BB0_2 Depth=1
	v_mov_b32_e32 v5, v7
	v_mov_b32_e32 v6, v8
	s_branch .LBB0_2
.LBB0_8:
	v_mov_b32_e32 v8, v6
	v_mov_b32_e32 v7, v5
.LBB0_9:
	s_lshl_b64 s[0:1], s[10:11], 3
	s_add_u32 s0, s2, s0
	s_addc_u32 s1, s3, s1
	s_load_dwordx2 s[2:3], s[0:1], 0x0
	s_load_dwordx2 s[6:7], s[4:5], 0x20
	v_mov_b32_e32 v72, 0
                                        ; implicit-def: $vgpr68_vgpr69
                                        ; implicit-def: $vgpr60_vgpr61
                                        ; implicit-def: $vgpr44_vgpr45
                                        ; implicit-def: $vgpr36_vgpr37
                                        ; implicit-def: $vgpr52_vgpr53
                                        ; implicit-def: $vgpr40_vgpr41
                                        ; implicit-def: $vgpr64_vgpr65
                                        ; implicit-def: $vgpr32_vgpr33
                                        ; implicit-def: $vgpr28_vgpr29
                                        ; implicit-def: $vgpr48_vgpr49
                                        ; implicit-def: $vgpr56_vgpr57
	s_waitcnt lgkmcnt(0)
	v_mad_u64_u32 v[1:2], s[0:1], s2, v7, v[1:2]
	v_mul_lo_u32 v3, s2, v8
	v_mul_lo_u32 v4, s3, v7
	s_mov_b32 s0, 0x1681682
	v_mul_hi_u32 v5, v0, s0
	v_cmp_gt_u64_e64 s[0:1], s[6:7], v[7:8]
	v_add3_u32 v2, v4, v2, v3
	v_lshlrev_b64 v[70:71], 4, v[1:2]
	v_mul_u32_u24_e32 v3, 0xb6, v5
	v_sub_u32_e32 v73, v0, v3
                                        ; implicit-def: $vgpr2_vgpr3
	s_and_saveexec_b64 s[2:3], s[0:1]
	s_cbranch_execz .LBB0_13
; %bb.10:
	v_mov_b32_e32 v74, 0
	v_mov_b32_e32 v0, s13
	v_add_co_u32_e32 v2, vcc, s12, v70
	v_addc_co_u32_e32 v3, vcc, v0, v71, vcc
	v_lshlrev_b64 v[0:1], 4, v[73:74]
	s_movk_i32 s4, 0x5b
	v_add_co_u32_e32 v4, vcc, v2, v0
	v_addc_co_u32_e32 v5, vcc, v3, v1, vcc
	v_add_co_u32_e32 v6, vcc, 0x3000, v4
	v_addc_co_u32_e32 v7, vcc, 0, v5, vcc
	;; [unrolled: 2-line block ×3, first 2 shown]
	global_load_dwordx4 v[0:3], v[6:7], off offset:3728
	global_load_dwordx4 v[26:29], v[8:9], off offset:2544
	v_add_co_u32_e32 v6, vcc, 0x1000, v4
	v_addc_co_u32_e32 v7, vcc, 0, v5, vcc
	v_add_co_u32_e32 v8, vcc, 0x5000, v4
	v_addc_co_u32_e32 v9, vcc, 0, v5, vcc
	;; [unrolled: 2-line block ×4, first 2 shown]
	global_load_dwordx4 v[30:33], v[6:7], off offset:1728
	global_load_dwordx4 v[62:65], v[8:9], off offset:1360
	global_load_dwordx4 v[38:41], v[10:11], off offset:544
	global_load_dwordx4 v[34:37], v[10:11], off offset:3456
	global_load_dwordx4 v[50:53], v[12:13], off offset:176
	global_load_dwordx4 v[42:45], v[12:13], off offset:3088
	global_load_dwordx4 v[54:57], v[4:5], off
	global_load_dwordx4 v[46:49], v[4:5], off offset:2912
	v_cmp_gt_u32_e32 vcc, s4, v73
                                        ; implicit-def: $vgpr58_vgpr59
                                        ; implicit-def: $vgpr66_vgpr67
	s_and_saveexec_b64 s[4:5], vcc
	s_cbranch_execz .LBB0_12
; %bb.11:
	v_add_co_u32_e32 v6, vcc, 0x3000, v4
	v_addc_co_u32_e32 v7, vcc, 0, v5, vcc
	v_add_co_u32_e32 v4, vcc, 0x7000, v4
	v_addc_co_u32_e32 v5, vcc, 0, v5, vcc
	global_load_dwordx4 v[58:61], v[6:7], off offset:2272
	global_load_dwordx4 v[66:69], v[4:5], off offset:1904
.LBB0_12:
	s_or_b64 exec, exec, s[4:5]
	v_mov_b32_e32 v72, v73
.LBB0_13:
	s_or_b64 exec, exec, s[2:3]
	s_waitcnt vmcnt(1)
	v_add_f64 v[6:7], v[54:55], -v[0:1]
	s_waitcnt vmcnt(0)
	v_add_f64 v[10:11], v[46:47], -v[26:27]
	v_add_f64 v[14:15], v[30:31], -v[62:63]
	;; [unrolled: 1-line block ×5, first 2 shown]
	v_add_u32_e32 v155, 0xb6, v73
	s_movk_i32 s2, 0x5b
	v_fma_f64 v[4:5], v[54:55], 2.0, -v[6:7]
	v_fma_f64 v[8:9], v[46:47], 2.0, -v[10:11]
	;; [unrolled: 1-line block ×6, first 2 shown]
	v_add_u32_e32 v0, 0x38e, v73
	v_lshl_add_u32 v50, v73, 4, 0
	v_lshl_add_u32 v54, v155, 4, 0
	v_cmp_gt_u32_e64 s[2:3], s2, v73
	v_lshl_add_u32 v51, v0, 4, 0
	ds_write_b128 v50, v[4:7]
	ds_write_b128 v54, v[8:11]
	ds_write_b128 v50, v[12:15] offset:5824
	ds_write_b128 v50, v[20:23] offset:8736
	;; [unrolled: 1-line block ×3, first 2 shown]
	s_and_saveexec_b64 s[4:5], s[2:3]
	s_cbranch_execz .LBB0_15
; %bb.14:
	ds_write_b128 v51, v[24:27]
.LBB0_15:
	s_or_b64 exec, exec, s[4:5]
	s_movk_i32 s4, 0x9a
	v_add_u32_e32 v59, 0x16c0, v50
	v_add_u32_e32 v58, 0x2220, v50
	;; [unrolled: 1-line block ×3, first 2 shown]
	v_cmp_gt_u32_e32 vcc, s4, v73
	s_waitcnt lgkmcnt(0)
	s_barrier
	s_waitcnt lgkmcnt(0)
                                        ; implicit-def: $vgpr76_vgpr77
	s_and_saveexec_b64 s[4:5], vcc
	s_cbranch_execz .LBB0_17
; %bb.16:
	v_lshlrev_b32_e32 v0, 3, v73
	v_sub_u32_e32 v0, v50, v0
	v_add_u32_e32 v1, 0x800, v0
	ds_read2_b64 v[8:11], v1 offset0:52 offset1:206
	v_add_u32_e32 v1, 0x1200, v0
	ds_read2_b64 v[12:15], v1 offset0:40 offset1:194
	;; [unrolled: 2-line block ×4, first 2 shown]
	v_add_u32_e32 v1, 0x3000, v0
	ds_read2_b64 v[4:7], v0 offset1:154
	ds_read2_b64 v[24:27], v1 offset0:4 offset1:158
	ds_read_b64 v[76:77], v0 offset:14784
.LBB0_17:
	s_or_b64 exec, exec, s[4:5]
	v_add_f64 v[2:3], v[56:57], -v[2:3]
	v_add_f64 v[30:31], v[48:49], -v[28:29]
	;; [unrolled: 1-line block ×6, first 2 shown]
	s_waitcnt lgkmcnt(0)
	s_barrier
	v_fma_f64 v[0:1], v[56:57], 2.0, -v[2:3]
	v_fma_f64 v[28:29], v[48:49], 2.0, -v[30:31]
	;; [unrolled: 1-line block ×6, first 2 shown]
	ds_write_b128 v50, v[0:3]
	ds_write_b128 v54, v[28:31]
	;; [unrolled: 1-line block ×5, first 2 shown]
	s_and_saveexec_b64 s[4:5], s[2:3]
	s_cbranch_execz .LBB0_19
; %bb.18:
	ds_write_b128 v51, v[44:47]
.LBB0_19:
	s_or_b64 exec, exec, s[4:5]
	v_lshl_add_u32 v154, v73, 3, 0
	s_waitcnt lgkmcnt(0)
	s_barrier
	s_waitcnt lgkmcnt(0)
                                        ; implicit-def: $vgpr56_vgpr57
	s_and_saveexec_b64 s[2:3], vcc
	s_cbranch_execz .LBB0_21
; %bb.20:
	v_add_u32_e32 v36, 0x1c00, v154
	v_add_u32_e32 v28, 0x800, v154
	;; [unrolled: 1-line block ×3, first 2 shown]
	ds_read2_b64 v[40:43], v36 offset0:28 offset1:182
	v_add_u32_e32 v36, 0x2400, v154
	v_add_u32_e32 v44, 0x3000, v154
	ds_read2_b64 v[0:3], v154 offset1:154
	ds_read2_b64 v[28:31], v28 offset0:52 offset1:206
	ds_read2_b64 v[32:35], v32 offset0:40 offset1:194
	;; [unrolled: 1-line block ×4, first 2 shown]
	ds_read_b64 v[56:57], v154 offset:14784
.LBB0_21:
	s_or_b64 exec, exec, s[2:3]
	v_and_b32_e32 v156, 1, v73
	v_mul_u32_u24_e32 v48, 12, v156
	v_lshlrev_b32_e32 v62, 4, v48
	global_load_dwordx4 v[48:51], v62, s[8:9] offset:16
	global_load_dwordx4 v[52:55], v62, s[8:9] offset:32
	;; [unrolled: 1-line block ×11, first 2 shown]
	global_load_dwordx4 v[106:109], v62, s[8:9]
	s_mov_b32 s20, 0x42a4c3d2
	s_mov_b32 s30, 0x66966769
	;; [unrolled: 1-line block ×30, first 2 shown]
	s_waitcnt vmcnt(0) lgkmcnt(0)
	s_barrier
	v_mul_f64 v[62:63], v[28:29], v[50:51]
	v_mul_f64 v[50:51], v[8:9], v[50:51]
	;; [unrolled: 1-line block ×18, first 2 shown]
	v_fma_f64 v[74:75], v[8:9], v[48:49], v[62:63]
	v_fma_f64 v[54:55], v[28:29], v[48:49], -v[50:51]
	v_fma_f64 v[62:63], v[14:15], v[64:65], v[114:115]
	v_fma_f64 v[48:49], v[34:35], v[64:65], -v[116:117]
	;; [unrolled: 2-line block ×3, first 2 shown]
	v_fma_f64 v[56:57], v[2:3], v[106:107], -v[132:133]
	v_mul_f64 v[120:121], v[42:43], v[84:85]
	v_mul_f64 v[84:85], v[22:23], v[84:85]
	;; [unrolled: 1-line block ×6, first 2 shown]
	v_fma_f64 v[66:67], v[12:13], v[58:59], v[112:113]
	v_fma_f64 v[50:51], v[32:33], v[58:59], -v[60:61]
	v_fma_f64 v[58:59], v[20:21], v[78:79], v[118:119]
	v_fma_f64 v[34:35], v[40:41], v[78:79], -v[80:81]
	v_fma_f64 v[20:21], v[46:47], v[98:99], -v[100:101]
	v_fma_f64 v[78:79], v[76:77], v[102:103], v[130:131]
	v_fma_f64 v[80:81], v[6:7], v[106:107], v[108:109]
	v_add_f64 v[2:3], v[56:57], -v[16:17]
	v_fma_f64 v[68:69], v[10:11], v[52:53], v[68:69]
	v_fma_f64 v[52:53], v[30:31], v[52:53], -v[110:111]
	v_fma_f64 v[60:61], v[22:23], v[82:83], v[120:121]
	v_fma_f64 v[30:31], v[42:43], v[82:83], -v[84:85]
	v_fma_f64 v[28:29], v[36:37], v[86:87], -v[88:89]
	v_fma_f64 v[76:77], v[26:27], v[98:99], v[128:129]
	v_fma_f64 v[22:23], v[44:45], v[94:95], -v[96:97]
	v_fma_f64 v[46:47], v[24:25], v[94:95], v[126:127]
	v_add_f64 v[6:7], v[54:55], -v[20:21]
	v_fma_f64 v[44:45], v[18:19], v[90:91], v[124:125]
	v_fma_f64 v[24:25], v[38:39], v[90:91], -v[92:93]
	v_add_f64 v[124:125], v[80:81], v[78:79]
	v_mul_f64 v[36:37], v[2:3], s[18:19]
	v_mul_f64 v[38:39], v[2:3], s[20:21]
	;; [unrolled: 1-line block ×3, first 2 shown]
	v_add_f64 v[120:121], v[74:75], v[76:77]
	v_mul_f64 v[18:19], v[6:7], s[20:21]
	v_mul_f64 v[26:27], v[6:7], s[22:23]
	;; [unrolled: 1-line block ×6, first 2 shown]
	v_fma_f64 v[2:3], v[124:125], s[2:3], -v[36:37]
	v_fma_f64 v[10:11], v[124:125], s[4:5], -v[38:39]
	;; [unrolled: 1-line block ×3, first 2 shown]
	s_mov_b32 s19, 0x3fddbe06
	v_add_f64 v[8:9], v[52:53], -v[22:23]
	v_mul_f64 v[86:87], v[6:7], s[34:35]
	v_mul_f64 v[106:107], v[6:7], s[28:29]
	v_mul_f64 v[90:91], v[6:7], s[18:19]
	v_fma_f64 v[6:7], v[120:121], s[4:5], -v[18:19]
	v_fma_f64 v[12:13], v[120:121], s[6:7], -v[26:27]
	;; [unrolled: 1-line block ×4, first 2 shown]
	v_add_f64 v[2:3], v[4:5], v[2:3]
	v_add_f64 v[10:11], v[4:5], v[10:11]
	;; [unrolled: 1-line block ×4, first 2 shown]
	v_mul_f64 v[32:33], v[8:9], s[30:31]
	v_fma_f64 v[94:95], v[120:121], s[14:15], -v[86:87]
	v_fma_f64 v[96:97], v[124:125], s[14:15], -v[114:115]
	v_fma_f64 v[98:99], v[124:125], s[16:17], -v[110:111]
	v_add_f64 v[104:105], v[4:5], v[88:89]
	v_add_f64 v[2:3], v[6:7], v[2:3]
	v_add_f64 v[6:7], v[12:13], v[10:11]
	v_add_f64 v[10:11], v[92:93], v[14:15]
	v_mul_f64 v[92:93], v[8:9], s[18:19]
	v_add_f64 v[108:109], v[50:51], -v[24:25]
	v_mul_f64 v[88:89], v[8:9], s[36:37]
	v_mul_f64 v[42:43], v[8:9], s[24:25]
	v_fma_f64 v[100:101], v[120:121], s[10:11], -v[106:107]
	v_fma_f64 v[102:103], v[120:121], s[2:3], -v[90:91]
	v_add_f64 v[96:97], v[4:5], v[96:97]
	v_add_f64 v[98:99], v[4:5], v[98:99]
	v_fma_f64 v[12:13], v[130:131], s[10:11], -v[32:33]
	v_add_f64 v[14:15], v[94:95], v[104:105]
	v_fma_f64 v[118:119], v[130:131], s[2:3], -v[92:93]
	v_add_f64 v[146:147], v[66:67], v[44:45]
	v_mul_f64 v[94:95], v[108:109], s[22:23]
	v_fma_f64 v[104:105], v[130:131], s[6:7], -v[88:89]
	v_add_f64 v[100:101], v[100:101], v[96:97]
	v_add_f64 v[102:103], v[102:103], v[98:99]
	v_fma_f64 v[98:99], v[130:131], s[16:17], -v[42:43]
	v_mul_f64 v[116:117], v[8:9], s[20:21]
	v_mul_f64 v[112:113], v[8:9], s[26:27]
	;; [unrolled: 1-line block ×3, first 2 shown]
	v_add_f64 v[2:3], v[12:13], v[2:3]
	v_add_f64 v[12:13], v[118:119], v[14:15]
	v_fma_f64 v[118:119], v[146:147], s[6:7], -v[94:95]
	v_add_f64 v[8:9], v[104:105], v[10:11]
	v_mul_f64 v[104:105], v[108:109], s[30:31]
	s_mov_b32 s31, 0x3fcea1e5
	s_mov_b32 s30, s24
	v_add_f64 v[6:7], v[98:99], v[6:7]
	v_fma_f64 v[10:11], v[130:131], s[4:5], -v[116:117]
	v_fma_f64 v[14:15], v[130:131], s[14:15], -v[112:113]
	;; [unrolled: 1-line block ×3, first 2 shown]
	v_mul_f64 v[98:99], v[108:109], s[18:19]
	v_mul_f64 v[126:127], v[108:109], s[30:31]
	v_add_f64 v[2:3], v[118:119], v[2:3]
	v_add_f64 v[118:119], v[48:49], -v[28:29]
	s_mov_b32 s35, 0x3fea55e2
	s_mov_b32 s34, s20
	v_add_f64 v[10:11], v[10:11], v[100:101]
	v_add_f64 v[14:15], v[14:15], v[102:103]
	;; [unrolled: 1-line block ×3, first 2 shown]
	v_fma_f64 v[122:123], v[146:147], s[2:3], -v[98:99]
	v_fma_f64 v[128:129], v[146:147], s[10:11], -v[104:105]
	v_fma_f64 v[138:139], v[146:147], s[16:17], -v[126:127]
	v_mul_f64 v[134:135], v[108:109], s[34:35]
	v_add_f64 v[136:137], v[62:63], v[64:65]
	v_mul_f64 v[100:101], v[118:119], s[26:27]
	v_mul_f64 v[102:103], v[118:119], s[28:29]
	;; [unrolled: 1-line block ×4, first 2 shown]
	v_add_f64 v[8:9], v[122:123], v[8:9]
	v_add_f64 v[12:13], v[128:129], v[12:13]
	v_fma_f64 v[122:123], v[146:147], s[4:5], -v[134:135]
	v_add_f64 v[10:11], v[138:139], v[10:11]
	v_fma_f64 v[128:129], v[136:137], s[14:15], -v[100:101]
	v_fma_f64 v[142:143], v[136:137], s[10:11], -v[102:103]
	;; [unrolled: 1-line block ×4, first 2 shown]
	v_mul_f64 v[140:141], v[118:119], s[18:19]
	v_mul_f64 v[138:139], v[118:119], s[22:23]
	v_add_f64 v[150:151], v[34:35], -v[30:31]
	v_add_f64 v[14:15], v[122:123], v[14:15]
	v_add_f64 v[2:3], v[128:129], v[2:3]
	;; [unrolled: 1-line block ×5, first 2 shown]
	v_fma_f64 v[6:7], v[136:137], s[2:3], -v[140:141]
	v_fma_f64 v[8:9], v[136:137], s[6:7], -v[138:139]
	v_add_f64 v[142:143], v[58:59], v[60:61]
	v_mul_f64 v[118:119], v[150:151], s[24:25]
	v_mul_f64 v[122:123], v[150:151], s[18:19]
	;; [unrolled: 1-line block ×6, first 2 shown]
	v_add_f64 v[159:160], v[6:7], v[10:11]
	v_add_f64 v[161:162], v[8:9], v[14:15]
	v_fma_f64 v[6:7], v[142:143], s[16:17], -v[118:119]
	v_fma_f64 v[8:9], v[142:143], s[2:3], -v[122:123]
	;; [unrolled: 1-line block ×6, first 2 shown]
	v_add_f64 v[6:7], v[6:7], v[2:3]
	v_add_f64 v[8:9], v[8:9], v[152:153]
	;; [unrolled: 1-line block ×6, first 2 shown]
	v_lshrrev_b32_e32 v157, 1, v73
	s_and_saveexec_b64 s[18:19], vcc
	s_cbranch_execz .LBB0_23
; %bb.22:
	v_mul_f64 v[164:165], v[124:125], s[14:15]
	v_mul_f64 v[152:153], v[124:125], s[2:3]
	;; [unrolled: 1-line block ×8, first 2 shown]
	v_add_f64 v[114:115], v[164:165], v[114:115]
	v_mul_f64 v[168:169], v[120:121], s[6:7]
	v_mul_f64 v[170:171], v[120:121], s[16:17]
	;; [unrolled: 1-line block ×5, first 2 shown]
	v_add_f64 v[110:111], v[124:125], v[110:111]
	v_add_f64 v[106:107], v[174:175], v[106:107]
	;; [unrolled: 1-line block ×4, first 2 shown]
	v_mul_f64 v[192:193], v[146:147], s[16:17]
	v_add_f64 v[36:37], v[152:153], v[36:37]
	v_add_f64 v[90:91], v[120:121], v[90:91]
	;; [unrolled: 1-line block ×9, first 2 shown]
	v_mul_f64 v[176:177], v[130:131], s[10:11]
	v_add_f64 v[18:19], v[166:167], v[18:19]
	v_add_f64 v[90:91], v[90:91], v[110:111]
	;; [unrolled: 1-line block ×6, first 2 shown]
	v_mul_f64 v[178:179], v[130:131], s[16:17]
	v_mul_f64 v[180:181], v[130:131], s[6:7]
	v_add_f64 v[40:41], v[170:171], v[40:41]
	v_add_f64 v[84:85], v[4:5], v[84:85]
	;; [unrolled: 1-line block ×6, first 2 shown]
	v_mul_f64 v[182:183], v[130:131], s[2:3]
	v_mul_f64 v[130:131], v[130:131], s[14:15]
	v_add_f64 v[86:87], v[172:173], v[86:87]
	v_add_f64 v[4:5], v[4:5], v[82:83]
	v_mul_f64 v[186:187], v[146:147], s[6:7]
	v_add_f64 v[32:33], v[176:177], v[32:33]
	v_add_f64 v[110:111], v[110:111], v[62:63]
	;; [unrolled: 1-line block ×3, first 2 shown]
	v_mul_f64 v[188:189], v[146:147], s[14:15]
	v_mul_f64 v[164:165], v[146:147], s[2:3]
	v_add_f64 v[82:83], v[180:181], v[88:89]
	v_add_f64 v[40:41], v[40:41], v[84:85]
	;; [unrolled: 1-line block ×5, first 2 shown]
	v_mul_f64 v[190:191], v[146:147], s[10:11]
	v_mul_f64 v[120:121], v[136:137], s[2:3]
	v_add_f64 v[112:113], v[130:131], v[112:113]
	v_add_f64 v[92:93], v[182:183], v[92:93]
	v_add_f64 v[4:5], v[86:87], v[4:5]
	v_mul_f64 v[146:147], v[146:147], s[4:5]
	v_mul_f64 v[194:195], v[136:137], s[14:15]
	v_add_f64 v[110:111], v[110:111], v[60:61]
	v_add_f64 v[84:85], v[186:187], v[94:95]
	v_add_f64 v[18:19], v[32:33], v[18:19]
	;; [unrolled: 5-line block ×3, first 2 shown]
	v_add_f64 v[36:37], v[110:111], v[64:65]
	v_add_f64 v[26:27], v[42:43], v[26:27]
	v_mul_f64 v[198:199], v[136:137], s[16:17]
	v_add_f64 v[90:91], v[112:113], v[90:91]
	v_add_f64 v[112:113], v[120:121], v[140:141]
	v_mul_f64 v[114:115], v[142:143], s[4:5]
	v_add_f64 v[104:105], v[190:191], v[104:105]
	v_add_f64 v[4:5], v[92:93], v[4:5]
	;; [unrolled: 1-line block ×3, first 2 shown]
	v_mul_f64 v[124:125], v[136:137], s[6:7]
	v_add_f64 v[134:135], v[146:147], v[134:135]
	v_mul_f64 v[136:137], v[142:143], s[16:17]
	v_add_f64 v[42:43], v[194:195], v[100:101]
	v_add_f64 v[18:19], v[84:85], v[18:19]
	v_mul_f64 v[116:117], v[142:143], s[2:3]
	v_mul_f64 v[120:121], v[142:143], s[14:15]
	v_add_f64 v[32:33], v[32:33], v[46:47]
	v_add_f64 v[36:37], v[196:197], v[108:109]
	;; [unrolled: 1-line block ×5, first 2 shown]
	v_mul_f64 v[126:127], v[142:143], s[6:7]
	v_add_f64 v[106:107], v[112:113], v[106:107]
	v_add_f64 v[112:113], v[114:115], v[144:145]
	;; [unrolled: 1-line block ×4, first 2 shown]
	v_mul_f64 v[130:131], v[142:143], s[10:11]
	v_add_f64 v[124:125], v[124:125], v[138:139]
	v_add_f64 v[90:91], v[134:135], v[90:91]
	;; [unrolled: 1-line block ×20, first 2 shown]
	v_mul_u32_u24_e32 v40, 26, v157
	v_or_b32_e32 v40, v40, v156
	v_lshl_add_u32 v40, v40, 3, 0
	ds_write2_b64 v40, v[32:33], v[18:19] offset1:2
	ds_write2_b64 v40, v[26:27], v[36:37] offset0:4 offset1:6
	ds_write2_b64 v40, v[4:5], v[42:43] offset0:8 offset1:10
	;; [unrolled: 1-line block ×5, first 2 shown]
	ds_write_b64 v40, v[6:7] offset:192
.LBB0_23:
	s_or_b64 exec, exec, s[18:19]
	s_waitcnt lgkmcnt(0)
	s_barrier
	ds_read_b64 v[18:19], v154
	ds_read_b64 v[40:41], v154 offset:2288
	ds_read_b64 v[36:37], v154 offset:4576
	;; [unrolled: 1-line block ×6, first 2 shown]
	s_movk_i32 s2, 0x68
	v_cmp_gt_u32_e64 s[2:3], s2, v73
                                        ; implicit-def: $vgpr4_vgpr5
	s_and_saveexec_b64 s[4:5], s[2:3]
	s_cbranch_execz .LBB0_25
; %bb.24:
	ds_read_b64 v[2:3], v154 offset:1456
	ds_read_b64 v[14:15], v154 offset:3744
	;; [unrolled: 1-line block ×7, first 2 shown]
.LBB0_25:
	s_or_b64 exec, exec, s[4:5]
	v_add_f64 v[90:91], v[56:57], v[16:17]
	s_mov_b32 s22, 0xe00740e9
	s_mov_b32 s23, 0x3fec55a7
	v_add_f64 v[84:85], v[80:81], -v[78:79]
	s_mov_b32 s10, 0x4267c47c
	s_mov_b32 s30, 0xb2365da1
	;; [unrolled: 1-line block ×4, first 2 shown]
	v_mul_f64 v[78:79], v[90:91], s[22:23]
	v_mul_f64 v[86:87], v[90:91], s[30:31]
	s_mov_b32 s24, 0x1ea71119
	s_mov_b32 s26, 0xebaa3ed8
	;; [unrolled: 1-line block ×6, first 2 shown]
	v_fma_f64 v[88:89], v[84:85], s[10:11], v[78:79]
	s_mov_b32 s5, 0xbfedeba7
	s_mov_b32 s39, 0xbfe7f3cc
	v_mul_f64 v[80:81], v[90:91], s[24:25]
	v_mul_f64 v[82:83], v[90:91], s[26:27]
	v_fma_f64 v[98:99], v[84:85], s[4:5], v[86:87]
	v_add_f64 v[100:101], v[54:55], v[20:21]
	s_mov_b32 s6, 0x42a4c3d2
	v_add_f64 v[96:97], v[0:1], v[88:89]
	v_mul_f64 v[88:89], v[90:91], s[38:39]
	s_mov_b32 s18, 0x66966769
	s_mov_b32 s16, 0x24c2f84
	;; [unrolled: 1-line block ×5, first 2 shown]
	v_fma_f64 v[92:93], v[84:85], s[6:7], v[80:81]
	v_fma_f64 v[94:95], v[84:85], s[18:19], v[82:83]
	v_add_f64 v[104:105], v[74:75], -v[76:77]
	v_mul_f64 v[74:75], v[100:101], s[24:25]
	v_mul_f64 v[76:77], v[100:101], s[30:31]
	v_fma_f64 v[102:103], v[84:85], s[16:17], v[88:89]
	v_add_f64 v[116:117], v[0:1], v[98:99]
	v_mul_f64 v[98:99], v[100:101], s[26:27]
	s_mov_b32 s42, 0x93053d00
	s_mov_b32 s43, 0xbfef11f4
	;; [unrolled: 1-line block ×4, first 2 shown]
	v_mul_f64 v[90:91], v[90:91], s[42:43]
	v_add_f64 v[108:109], v[0:1], v[92:93]
	v_fma_f64 v[110:111], v[104:105], s[6:7], v[74:75]
	v_fma_f64 v[112:113], v[104:105], s[4:5], v[76:77]
	v_add_f64 v[114:115], v[0:1], v[94:95]
	v_mul_f64 v[92:93], v[100:101], s[42:43]
	v_add_f64 v[102:103], v[0:1], v[102:103]
	v_mul_f64 v[94:95], v[100:101], s[38:39]
	v_add_f64 v[118:119], v[52:53], v[22:23]
	v_add_f64 v[134:135], v[68:69], -v[46:47]
	v_fma_f64 v[46:47], v[104:105], s[14:15], v[98:99]
	s_mov_b32 s20, 0x4bc48dbf
	s_mov_b32 s21, 0xbfcea1e5
	s_mov_b32 s35, 0x3fe5384d
	s_mov_b32 s34, s16
	v_fma_f64 v[106:107], v[84:85], s[20:21], v[90:91]
	v_add_f64 v[110:111], v[110:111], v[96:97]
	v_add_f64 v[108:109], v[112:113], v[108:109]
	v_fma_f64 v[112:113], v[104:105], s[20:21], v[92:93]
	v_fma_f64 v[120:121], v[104:105], s[34:35], v[94:95]
	v_mul_f64 v[100:101], v[100:101], s[22:23]
	v_mul_f64 v[68:69], v[118:119], s[26:27]
	;; [unrolled: 1-line block ×3, first 2 shown]
	v_add_f64 v[46:47], v[46:47], v[102:103]
	v_mul_f64 v[102:103], v[118:119], s[30:31]
	v_add_f64 v[130:131], v[50:51], v[24:25]
	s_mov_b32 s29, 0x3fddbe06
	s_mov_b32 s28, s10
	;; [unrolled: 1-line block ×4, first 2 shown]
	v_add_f64 v[106:107], v[0:1], v[106:107]
	v_fma_f64 v[122:123], v[104:105], s[28:29], v[100:101]
	v_fma_f64 v[124:125], v[134:135], s[18:19], v[68:69]
	;; [unrolled: 1-line block ×3, first 2 shown]
	v_add_f64 v[128:129], v[112:113], v[114:115]
	v_add_f64 v[120:121], v[120:121], v[116:117]
	v_mul_f64 v[112:113], v[118:119], s[22:23]
	v_fma_f64 v[132:133], v[134:135], s[40:41], v[102:103]
	v_mul_f64 v[116:117], v[118:119], s[24:25]
	v_add_f64 v[150:151], v[66:67], -v[44:45]
	v_mul_f64 v[66:67], v[130:131], s[30:31]
	v_add_f64 v[122:123], v[122:123], v[106:107]
	v_add_f64 v[124:125], v[124:125], v[110:111]
	;; [unrolled: 1-line block ×3, first 2 shown]
	v_mul_f64 v[114:115], v[118:119], s[38:39]
	v_mul_f64 v[106:107], v[130:131], s[38:39]
	v_fma_f64 v[44:45], v[134:135], s[28:29], v[112:113]
	v_mul_f64 v[108:109], v[130:131], s[22:23]
	v_mul_f64 v[110:111], v[130:131], s[26:27]
	v_fma_f64 v[118:119], v[134:135], s[6:7], v[116:117]
	v_add_f64 v[128:129], v[132:133], v[128:129]
	v_fma_f64 v[132:133], v[150:151], s[4:5], v[66:67]
	v_fma_f64 v[136:137], v[134:135], s[16:17], v[114:115]
	;; [unrolled: 1-line block ×3, first 2 shown]
	v_add_f64 v[44:45], v[44:45], v[120:121]
	v_fma_f64 v[120:121], v[150:151], s[28:29], v[108:109]
	v_fma_f64 v[140:141], v[150:151], s[18:19], v[110:111]
	v_add_f64 v[46:47], v[118:119], v[46:47]
	v_mul_f64 v[118:119], v[130:131], s[42:43]
	v_add_f64 v[142:143], v[132:133], v[124:125]
	v_add_f64 v[132:133], v[48:49], v[28:29]
	s_mov_b32 s45, 0x3fcea1e5
	s_mov_b32 s44, s20
	v_add_f64 v[136:137], v[136:137], v[122:123]
	v_add_f64 v[138:139], v[138:139], v[126:127]
	;; [unrolled: 1-line block ×4, first 2 shown]
	v_fma_f64 v[140:141], v[150:151], s[44:45], v[118:119]
	v_mul_f64 v[128:129], v[130:131], s[24:25]
	v_add_f64 v[152:153], v[62:63], -v[64:65]
	v_mul_f64 v[120:121], v[132:133], s[38:39]
	v_mul_f64 v[122:123], v[132:133], s[26:27]
	;; [unrolled: 1-line block ×4, first 2 shown]
	s_mov_b32 s37, 0x3fea55e2
	s_mov_b32 s36, s6
	v_fma_f64 v[62:63], v[150:151], s[36:37], v[128:129]
	v_add_f64 v[46:47], v[140:141], v[46:47]
	v_fma_f64 v[64:65], v[152:153], s[16:17], v[120:121]
	v_fma_f64 v[140:141], v[152:153], s[14:15], v[122:123]
	;; [unrolled: 1-line block ×4, first 2 shown]
	v_mul_f64 v[130:131], v[132:133], s[22:23]
	v_mul_f64 v[132:133], v[132:133], s[30:31]
	v_add_f64 v[158:159], v[34:35], v[30:31]
	v_add_f64 v[62:63], v[62:63], v[136:137]
	;; [unrolled: 1-line block ×6, first 2 shown]
	v_fma_f64 v[164:165], v[152:153], s[28:29], v[130:131]
	v_fma_f64 v[166:167], v[152:153], s[4:5], v[132:133]
	v_add_f64 v[148:149], v[58:59], -v[60:61]
	v_mul_f64 v[136:137], v[158:159], s[42:43]
	v_mul_f64 v[138:139], v[158:159], s[22:23]
	;; [unrolled: 1-line block ×6, first 2 shown]
	v_add_f64 v[158:159], v[164:165], v[46:47]
	v_add_f64 v[164:165], v[166:167], v[62:63]
	v_fma_f64 v[46:47], v[148:149], s[20:21], v[136:137]
	v_fma_f64 v[58:59], v[148:149], s[28:29], v[138:139]
	;; [unrolled: 1-line block ×6, first 2 shown]
	s_waitcnt lgkmcnt(0)
	s_barrier
	v_add_f64 v[46:47], v[46:47], v[64:65]
	v_add_f64 v[58:59], v[58:59], v[160:161]
	;; [unrolled: 1-line block ×6, first 2 shown]
	s_and_saveexec_b64 s[22:23], vcc
	s_cbranch_execz .LBB0_27
; %bb.26:
	v_add_f64 v[56:57], v[0:1], v[56:57]
	v_mul_f64 v[158:159], v[84:85], s[10:11]
	v_mul_f64 v[160:161], v[84:85], s[6:7]
	;; [unrolled: 1-line block ×7, first 2 shown]
	v_add_f64 v[54:55], v[56:57], v[54:55]
	v_mul_f64 v[56:57], v[104:105], s[4:5]
	v_mul_f64 v[170:171], v[104:105], s[20:21]
	;; [unrolled: 1-line block ×3, first 2 shown]
	v_add_f64 v[78:79], v[78:79], -v[158:159]
	v_add_f64 v[80:81], v[80:81], -v[160:161]
	;; [unrolled: 1-line block ×4, first 2 shown]
	v_add_f64 v[52:53], v[54:55], v[52:53]
	v_mul_f64 v[174:175], v[104:105], s[14:15]
	v_add_f64 v[84:85], v[90:91], -v[84:85]
	v_mul_f64 v[104:105], v[104:105], s[28:29]
	v_mul_f64 v[176:177], v[134:135], s[18:19]
	;; [unrolled: 1-line block ×5, first 2 shown]
	v_add_f64 v[50:51], v[52:53], v[50:51]
	v_add_f64 v[78:79], v[0:1], v[78:79]
	;; [unrolled: 1-line block ×5, first 2 shown]
	v_add_f64 v[56:57], v[76:77], -v[56:57]
	v_add_f64 v[76:77], v[94:95], -v[172:173]
	v_mul_f64 v[182:183], v[134:135], s[6:7]
	v_add_f64 v[48:49], v[50:51], v[48:49]
	v_mul_f64 v[134:135], v[134:135], s[16:17]
	v_add_f64 v[90:91], v[100:101], -v[104:105]
	v_mul_f64 v[184:185], v[150:151], s[4:5]
	v_mul_f64 v[186:187], v[150:151], s[34:35]
	;; [unrolled: 1-line block ×4, first 2 shown]
	v_add_f64 v[68:69], v[68:69], -v[176:177]
	v_add_f64 v[34:35], v[48:49], v[34:35]
	v_add_f64 v[48:49], v[88:89], -v[166:167]
	v_add_f64 v[54:55], v[102:103], -v[54:55]
	v_mul_f64 v[190:191], v[150:151], s[44:45]
	v_mul_f64 v[150:151], v[150:151], s[36:37]
	;; [unrolled: 1-line block ×5, first 2 shown]
	v_add_f64 v[30:31], v[34:35], v[30:31]
	v_add_f64 v[34:35], v[0:1], v[48:49]
	v_add_f64 v[48:49], v[74:75], -v[168:169]
	v_add_f64 v[74:75], v[92:93], -v[170:171]
	v_add_f64 v[0:1], v[0:1], v[84:85]
	v_add_f64 v[84:85], v[98:99], -v[174:175]
	v_mul_f64 v[198:199], v[152:153], s[44:45]
	v_add_f64 v[52:53], v[110:111], -v[52:53]
	v_add_f64 v[28:29], v[30:31], v[28:29]
	v_mul_f64 v[50:51], v[152:153], s[28:29]
	v_add_f64 v[30:31], v[48:49], v[78:79]
	v_add_f64 v[48:49], v[56:57], v[80:81]
	;; [unrolled: 1-line block ×4, first 2 shown]
	v_add_f64 v[76:77], v[96:97], -v[178:179]
	v_add_f64 v[78:79], v[112:113], -v[180:181]
	v_add_f64 v[34:35], v[84:85], v[34:35]
	v_add_f64 v[80:81], v[116:117], -v[182:183]
	v_add_f64 v[0:1], v[90:91], v[0:1]
	;; [unrolled: 2-line block ×3, first 2 shown]
	v_add_f64 v[28:29], v[68:69], v[30:31]
	v_add_f64 v[30:31], v[76:77], v[48:49]
	;; [unrolled: 1-line block ×4, first 2 shown]
	v_add_f64 v[56:57], v[66:67], -v[184:185]
	v_add_f64 v[66:67], v[106:107], -v[186:187]
	;; [unrolled: 1-line block ×3, first 2 shown]
	v_add_f64 v[34:35], v[80:81], v[34:35]
	v_add_f64 v[74:75], v[118:119], -v[190:191]
	v_mul_f64 v[152:153], v[152:153], s[4:5]
	v_add_f64 v[0:1], v[82:83], v[0:1]
	v_add_f64 v[76:77], v[128:129], -v[150:151]
	v_mul_f64 v[200:201], v[148:149], s[20:21]
	v_add_f64 v[22:23], v[24:25], v[22:23]
	v_add_f64 v[24:25], v[56:57], v[28:29]
	;; [unrolled: 1-line block ×5, first 2 shown]
	v_add_f64 v[52:53], v[120:121], -v[192:193]
	v_add_f64 v[54:55], v[122:123], -v[194:195]
	;; [unrolled: 1-line block ×4, first 2 shown]
	v_mul_f64 v[88:89], v[148:149], s[28:29]
	v_mul_f64 v[92:93], v[148:149], s[16:17]
	v_add_f64 v[34:35], v[74:75], v[34:35]
	v_add_f64 v[50:51], v[130:131], -v[50:51]
	v_mul_f64 v[84:85], v[148:149], s[36:37]
	v_mul_f64 v[78:79], v[148:149], s[4:5]
	v_add_f64 v[0:1], v[76:77], v[0:1]
	v_add_f64 v[68:69], v[132:133], -v[152:153]
	v_mul_f64 v[74:75], v[148:149], s[14:15]
	v_add_f64 v[20:21], v[22:23], v[20:21]
	v_add_f64 v[22:23], v[52:53], v[24:25]
	;; [unrolled: 1-line block ×5, first 2 shown]
	v_add_f64 v[48:49], v[136:137], -v[200:201]
	v_add_f64 v[34:35], v[50:51], v[34:35]
	v_add_f64 v[50:51], v[138:139], -v[88:89]
	v_add_f64 v[52:53], v[140:141], -v[92:93]
	;; [unrolled: 1-line block ×4, first 2 shown]
	v_add_f64 v[0:1], v[68:69], v[0:1]
	v_add_f64 v[66:67], v[146:147], -v[74:75]
	v_add_f64 v[16:17], v[20:21], v[16:17]
	v_add_f64 v[20:21], v[48:49], v[22:23]
	;; [unrolled: 1-line block ×6, first 2 shown]
	v_mul_u32_u24_e32 v34, 26, v157
	v_add_f64 v[0:1], v[66:67], v[0:1]
	v_or_b32_e32 v34, v34, v156
	v_lshl_add_u32 v34, v34, 3, 0
	ds_write2_b64 v34, v[16:17], v[20:21] offset1:2
	ds_write2_b64 v34, v[22:23], v[24:25] offset0:4 offset1:6
	ds_write2_b64 v34, v[28:29], v[30:31] offset0:8 offset1:10
	;; [unrolled: 1-line block ×5, first 2 shown]
	ds_write_b64 v34, v[46:47] offset:192
.LBB0_27:
	s_or_b64 exec, exec, s[22:23]
	s_waitcnt lgkmcnt(0)
	s_barrier
	ds_read_b64 v[16:17], v154
	ds_read_b64 v[34:35], v154 offset:2288
	ds_read_b64 v[30:31], v154 offset:4576
	;; [unrolled: 1-line block ×6, first 2 shown]
                                        ; implicit-def: $vgpr0_vgpr1
	s_and_saveexec_b64 s[4:5], s[2:3]
	s_cbranch_execz .LBB0_29
; %bb.28:
	ds_read_b64 v[44:45], v154 offset:1456
	ds_read_b64 v[64:65], v154 offset:3744
	;; [unrolled: 1-line block ×7, first 2 shown]
.LBB0_29:
	s_or_b64 exec, exec, s[4:5]
	s_movk_i32 s4, 0x4f
	v_mul_lo_u16_sdwa v48, v73, s4 dst_sel:DWORD dst_unused:UNUSED_PAD src0_sel:BYTE_0 src1_sel:DWORD
	v_lshrrev_b16_e32 v48, 11, v48
	v_mul_lo_u16_e32 v49, 26, v48
	v_sub_u16_e32 v49, v73, v49
	v_mov_b32_e32 v50, 6
	v_mul_u32_u24_sdwa v50, v49, v50 dst_sel:DWORD dst_unused:UNUSED_PAD src0_sel:BYTE_0 src1_sel:DWORD
	v_lshlrev_b32_e32 v66, 4, v50
	global_load_dwordx4 v[50:53], v66, s[8:9] offset:400
	global_load_dwordx4 v[54:57], v66, s[8:9] offset:384
	;; [unrolled: 1-line block ×6, first 2 shown]
	s_movk_i32 s4, 0x4ec5
	v_mul_u32_u24_sdwa v66, v155, s4 dst_sel:DWORD dst_unused:UNUSED_PAD src0_sel:WORD_0 src1_sel:DWORD
	v_lshrrev_b32_e32 v78, 19, v66
	v_mul_lo_u16_e32 v66, 26, v78
	v_sub_u16_e32 v132, v155, v66
	v_mul_u32_u24_e32 v66, 6, v132
	v_lshlrev_b32_e32 v66, 4, v66
	global_load_dwordx4 v[92:95], v66, s[8:9] offset:384
	global_load_dwordx4 v[96:99], v66, s[8:9] offset:400
	;; [unrolled: 1-line block ×6, first 2 shown]
	v_mov_b32_e32 v66, 3
	v_mul_u32_u24_e32 v48, 0x5b0, v48
	v_lshlrev_b32_sdwa v49, v66, v49 dst_sel:DWORD dst_unused:UNUSED_PAD src0_sel:DWORD src1_sel:BYTE_0
	v_add3_u32 v79, 0, v48, v49
	s_mov_b32 s6, 0x37e14327
	s_mov_b32 s14, 0xe976ee23
	;; [unrolled: 1-line block ×20, first 2 shown]
	s_waitcnt vmcnt(0) lgkmcnt(0)
	s_barrier
	v_mul_f64 v[66:67], v[30:31], v[52:53]
	v_mul_f64 v[48:49], v[34:35], v[56:57]
	;; [unrolled: 1-line block ×12, first 2 shown]
	v_fma_f64 v[48:49], v[40:41], v[54:55], v[48:49]
	v_fma_f64 v[54:55], v[34:35], v[54:55], -v[56:57]
	v_fma_f64 v[52:53], v[36:37], v[50:51], v[66:67]
	v_fma_f64 v[56:57], v[30:31], v[50:51], -v[68:69]
	v_fma_f64 v[50:51], v[42:43], v[84:85], v[122:123]
	v_fma_f64 v[68:69], v[38:39], v[88:89], v[120:121]
	;; [unrolled: 1-line block ×3, first 2 shown]
	v_fma_f64 v[24:25], v[24:25], v[74:75], -v[76:77]
	v_fma_f64 v[76:77], v[28:29], v[88:89], -v[90:91]
	v_fma_f64 v[74:75], v[26:27], v[80:81], v[118:119]
	v_fma_f64 v[20:21], v[20:21], v[80:81], -v[82:83]
	v_fma_f64 v[22:23], v[22:23], v[84:85], -v[86:87]
	v_add_f64 v[32:33], v[48:49], v[50:51]
	v_add_f64 v[34:35], v[52:53], v[68:69]
	v_mul_f64 v[124:125], v[64:65], v[94:95]
	v_mul_f64 v[94:95], v[14:15], v[94:95]
	v_add_f64 v[30:31], v[56:57], -v[76:77]
	v_add_f64 v[36:37], v[66:67], v[74:75]
	v_add_f64 v[38:39], v[20:21], -v[24:25]
	v_add_f64 v[82:83], v[54:55], -v[22:23]
	v_mul_f64 v[126:127], v[62:63], v[98:99]
	v_add_f64 v[84:85], v[34:35], v[32:33]
	v_fma_f64 v[26:27], v[14:15], v[92:93], v[124:125]
	v_fma_f64 v[28:29], v[64:65], v[92:93], -v[94:95]
	v_mul_f64 v[98:99], v[12:13], v[98:99]
	v_add_f64 v[14:15], v[32:33], -v[36:37]
	v_add_f64 v[90:91], v[38:39], -v[30:31]
	v_add_f64 v[64:65], v[30:31], -v[82:83]
	v_add_f64 v[92:93], v[38:39], v[30:31]
	v_add_f64 v[84:85], v[36:37], v[84:85]
	v_add_f64 v[36:37], v[36:37], -v[34:35]
	v_add_f64 v[38:39], v[82:83], -v[38:39]
	v_fma_f64 v[30:31], v[12:13], v[96:97], v[126:127]
	v_mul_f64 v[14:15], v[14:15], s[6:7]
	v_mul_f64 v[90:91], v[90:91], s[14:15]
	v_mul_f64 v[12:13], v[64:65], s[10:11]
	v_add_f64 v[32:33], v[34:35], -v[32:33]
	v_add_f64 v[18:19], v[18:19], v[84:85]
	v_mul_f64 v[34:35], v[36:37], s[4:5]
	v_mul_f64 v[128:129], v[60:61], v[102:103]
	v_add_f64 v[82:83], v[92:93], v[82:83]
	v_fma_f64 v[36:37], v[36:37], s[4:5], v[14:15]
	v_fma_f64 v[92:93], v[38:39], s[22:23], v[90:91]
	v_fma_f64 v[64:65], v[64:65], s[10:11], -v[90:91]
	v_fma_f64 v[12:13], v[38:39], s[26:27], -v[12:13]
	v_fma_f64 v[38:39], v[84:85], s[16:17], v[18:19]
	v_fma_f64 v[14:15], v[32:33], s[20:21], -v[14:15]
	v_fma_f64 v[84:85], v[32:33], s[18:19], -v[34:35]
	v_mul_f64 v[102:103], v[10:11], v[102:103]
	v_mul_f64 v[130:131], v[58:59], v[106:107]
	v_fma_f64 v[34:35], v[62:63], v[96:97], -v[98:99]
	v_fma_f64 v[32:33], v[10:11], v[100:101], v[128:129]
	v_fma_f64 v[10:11], v[82:83], s[24:25], v[92:93]
	;; [unrolled: 1-line block ×3, first 2 shown]
	v_add_f64 v[64:65], v[36:37], v[38:39]
	v_mul_f64 v[40:41], v[8:9], v[106:107]
	v_mul_f64 v[42:43], v[46:47], v[110:111]
	;; [unrolled: 1-line block ×5, first 2 shown]
	v_fma_f64 v[12:13], v[82:83], s[24:25], v[12:13]
	v_add_f64 v[14:15], v[14:15], v[38:39]
	v_add_f64 v[82:83], v[84:85], v[38:39]
	v_fma_f64 v[38:39], v[8:9], v[104:105], v[130:131]
	v_add_f64 v[8:9], v[10:11], v[64:65]
	v_fma_f64 v[36:37], v[60:61], v[100:101], -v[102:103]
	v_fma_f64 v[40:41], v[58:59], v[104:105], -v[40:41]
	v_fma_f64 v[6:7], v[6:7], v[108:109], v[42:43]
	v_fma_f64 v[42:43], v[46:47], v[108:109], -v[80:81]
	v_add_f64 v[58:59], v[12:13], v[14:15]
	v_add_f64 v[60:61], v[82:83], -v[62:63]
	v_fma_f64 v[4:5], v[4:5], v[112:113], v[86:87]
	v_fma_f64 v[46:47], v[0:1], v[112:113], -v[88:89]
	v_add_f64 v[62:63], v[62:63], v[82:83]
	v_add_f64 v[12:13], v[14:15], -v[12:13]
	v_add_f64 v[10:11], v[64:65], -v[10:11]
	ds_write2_b64 v79, v[18:19], v[8:9] offset1:26
	ds_write2_b64 v79, v[58:59], v[60:61] offset0:52 offset1:78
	ds_write2_b64 v79, v[62:63], v[12:13] offset0:104 offset1:130
	ds_write_b64 v79, v[10:11] offset:1248
	v_lshlrev_b32_e32 v58, 3, v132
	s_and_saveexec_b64 s[28:29], s[2:3]
	s_cbranch_execz .LBB0_31
; %bb.30:
	v_add_f64 v[0:1], v[30:31], v[6:7]
	v_add_f64 v[8:9], v[26:27], v[4:5]
	v_add_f64 v[10:11], v[40:41], -v[36:37]
	v_add_f64 v[12:13], v[34:35], -v[42:43]
	v_add_f64 v[14:15], v[32:33], v[38:39]
	v_add_f64 v[18:19], v[28:29], -v[46:47]
	v_add_f64 v[59:60], v[0:1], v[8:9]
	v_add_f64 v[61:62], v[10:11], -v[12:13]
	v_add_f64 v[63:64], v[8:9], -v[14:15]
	;; [unrolled: 1-line block ×4, first 2 shown]
	v_add_f64 v[12:13], v[10:11], v[12:13]
	v_add_f64 v[10:11], v[18:19], -v[10:11]
	v_add_f64 v[14:15], v[14:15], v[59:60]
	v_add_f64 v[0:1], v[0:1], -v[8:9]
	v_mul_f64 v[8:9], v[61:62], s[14:15]
	v_mul_f64 v[59:60], v[63:64], s[6:7]
	v_mul_f64 v[61:62], v[80:81], s[10:11]
	v_mul_f64 v[63:64], v[82:83], s[4:5]
	v_add_f64 v[12:13], v[12:13], v[18:19]
	v_add_f64 v[2:3], v[2:3], v[14:15]
	v_fma_f64 v[18:19], v[10:11], s[22:23], v[8:9]
	v_fma_f64 v[84:85], v[0:1], s[20:21], -v[59:60]
	v_fma_f64 v[10:11], v[10:11], s[26:27], -v[61:62]
	;; [unrolled: 1-line block ×4, first 2 shown]
	v_fma_f64 v[59:60], v[82:83], s[4:5], v[59:60]
	v_fma_f64 v[14:15], v[14:15], s[16:17], v[2:3]
	;; [unrolled: 1-line block ×5, first 2 shown]
	v_add_f64 v[12:13], v[84:85], v[14:15]
	v_add_f64 v[0:1], v[0:1], v[14:15]
	;; [unrolled: 1-line block ×3, first 2 shown]
	v_add_f64 v[59:60], v[12:13], -v[10:11]
	v_add_f64 v[61:62], v[0:1], -v[8:9]
	v_add_f64 v[63:64], v[18:19], v[14:15]
	v_add_f64 v[10:11], v[10:11], v[12:13]
	;; [unrolled: 1-line block ×3, first 2 shown]
	v_add_f64 v[8:9], v[14:15], -v[18:19]
	v_mul_lo_u16_e32 v12, 0xb6, v78
	v_lshlrev_b32_e32 v12, 3, v12
	v_add3_u32 v12, 0, v58, v12
	ds_write2_b64 v12, v[2:3], v[63:64] offset1:26
	ds_write2_b64 v12, v[10:11], v[61:62] offset0:52 offset1:78
	ds_write2_b64 v12, v[0:1], v[59:60] offset0:104 offset1:130
	ds_write_b64 v12, v[8:9] offset:1248
.LBB0_31:
	s_or_b64 exec, exec, s[28:29]
	v_add_f64 v[8:9], v[54:55], v[22:23]
	v_add_f64 v[10:11], v[56:57], v[76:77]
	v_add_f64 v[12:13], v[52:53], -v[68:69]
	v_add_f64 v[14:15], v[24:25], v[20:21]
	v_add_f64 v[18:19], v[74:75], -v[66:67]
	v_add_f64 v[20:21], v[48:49], -v[50:51]
	v_add_u32_e32 v59, 0xa00, v154
	v_add_u32_e32 v60, 0x1600, v154
	s_waitcnt lgkmcnt(0)
	v_add_f64 v[22:23], v[10:11], v[8:9]
	s_barrier
	v_add_f64 v[24:25], v[8:9], -v[14:15]
	v_add_f64 v[48:49], v[18:19], -v[12:13]
	;; [unrolled: 1-line block ×3, first 2 shown]
	v_add_f64 v[12:13], v[18:19], v[12:13]
	v_add_f64 v[18:19], v[20:21], -v[18:19]
	v_add_f64 v[8:9], v[10:11], -v[8:9]
	v_add_f64 v[22:23], v[14:15], v[22:23]
	v_add_f64 v[14:15], v[14:15], -v[10:11]
	v_mul_f64 v[24:25], v[24:25], s[6:7]
	v_mul_f64 v[48:49], v[48:49], s[14:15]
	;; [unrolled: 1-line block ×3, first 2 shown]
	v_add_f64 v[12:13], v[12:13], v[20:21]
	ds_read2_b64 v[0:3], v154 offset1:182
	v_add_f64 v[54:55], v[16:17], v[22:23]
	v_mul_f64 v[10:11], v[14:15], s[4:5]
	v_fma_f64 v[14:15], v[14:15], s[4:5], v[24:25]
	v_fma_f64 v[16:17], v[18:19], s[22:23], v[48:49]
	v_fma_f64 v[20:21], v[50:51], s[10:11], -v[48:49]
	v_fma_f64 v[18:19], v[18:19], s[26:27], -v[52:53]
	v_fma_f64 v[24:25], v[8:9], s[20:21], -v[24:25]
	v_add_u32_e32 v61, 0x2000, v154
	v_fma_f64 v[22:23], v[22:23], s[16:17], v[54:55]
	v_fma_f64 v[8:9], v[8:9], s[18:19], -v[10:11]
	v_add_u32_e32 v65, 0x2c00, v154
	v_fma_f64 v[48:49], v[12:13], s[24:25], v[16:17]
	v_fma_f64 v[50:51], v[12:13], s[24:25], v[20:21]
	;; [unrolled: 1-line block ×3, first 2 shown]
	v_add_f64 v[14:15], v[14:15], v[22:23]
	v_add_f64 v[52:53], v[24:25], v[22:23]
	;; [unrolled: 1-line block ×3, first 2 shown]
	ds_read_b64 v[24:25], v154 offset:14560
	ds_read2_b64 v[8:11], v59 offset0:44 offset1:226
	ds_read2_b64 v[16:19], v60 offset0:24 offset1:206
	;; [unrolled: 1-line block ×3, first 2 shown]
	v_add_f64 v[59:60], v[14:15], -v[48:49]
	v_add_f64 v[61:62], v[52:53], -v[12:13]
	v_add_f64 v[63:64], v[50:51], v[56:57]
	v_add_f64 v[50:51], v[56:57], -v[50:51]
	v_add_f64 v[52:53], v[12:13], v[52:53]
	v_add_f64 v[48:49], v[48:49], v[14:15]
	ds_read2_b64 v[12:15], v65 offset0:48 offset1:230
	s_waitcnt lgkmcnt(0)
	s_barrier
	ds_write2_b64 v79, v[54:55], v[59:60] offset1:26
	ds_write2_b64 v79, v[61:62], v[63:64] offset0:52 offset1:78
	ds_write2_b64 v79, v[50:51], v[52:53] offset0:104 offset1:130
	ds_write_b64 v79, v[48:49] offset:1248
	s_and_saveexec_b64 s[4:5], s[2:3]
	s_cbranch_execz .LBB0_33
; %bb.32:
	v_add_f64 v[28:29], v[28:29], v[46:47]
	v_add_f64 v[34:35], v[34:35], v[42:43]
	v_add_f64 v[4:5], v[26:27], -v[4:5]
	v_add_f64 v[6:7], v[30:31], -v[6:7]
	v_add_f64 v[26:27], v[36:37], v[40:41]
	v_add_f64 v[30:31], v[38:39], -v[32:33]
	s_mov_b32 s6, 0x36b3c0b5
	s_mov_b32 s2, 0x37e14327
	;; [unrolled: 1-line block ×3, first 2 shown]
	v_add_f64 v[32:33], v[34:35], v[28:29]
	s_mov_b32 s3, 0x3fe948f6
	s_mov_b32 s10, 0xe976ee23
	v_add_f64 v[36:37], v[28:29], -v[26:27]
	v_add_f64 v[38:39], v[30:31], v[6:7]
	v_add_f64 v[40:41], v[30:31], -v[6:7]
	v_add_f64 v[6:7], v[6:7], -v[4:5]
	v_add_f64 v[28:29], v[34:35], -v[28:29]
	v_add_f64 v[32:33], v[26:27], v[32:33]
	v_add_f64 v[26:27], v[26:27], -v[34:35]
	s_mov_b32 s11, 0x3fe11646
	s_mov_b32 s14, 0x429ad128
	v_mul_f64 v[36:37], v[36:37], s[2:3]
	s_mov_b32 s15, 0xbfebfeb5
	v_add_f64 v[30:31], v[4:5], -v[30:31]
	v_add_f64 v[4:5], v[38:39], v[4:5]
	v_add_f64 v[42:43], v[44:45], v[32:33]
	v_mul_f64 v[34:35], v[26:27], s[6:7]
	v_mul_f64 v[38:39], v[40:41], s[10:11]
	;; [unrolled: 1-line block ×3, first 2 shown]
	s_mov_b32 s3, 0x3fe77f67
	s_mov_b32 s2, 0x5476071b
	v_fma_f64 v[26:27], v[26:27], s[6:7], v[36:37]
	v_fma_f64 v[32:33], v[32:33], s[16:17], v[42:43]
	v_fma_f64 v[34:35], v[28:29], s[2:3], -v[34:35]
	s_mov_b32 s3, 0xbfe77f67
	v_fma_f64 v[28:29], v[28:29], s[2:3], -v[36:37]
	s_mov_b32 s3, 0xbfd5d0dc
	s_mov_b32 s2, 0xb247c609
	v_fma_f64 v[36:37], v[30:31], s[2:3], v[38:39]
	s_mov_b32 s3, 0x3fd5d0dc
	v_fma_f64 v[30:31], v[30:31], s[2:3], -v[40:41]
	v_fma_f64 v[6:7], v[6:7], s[14:15], -v[38:39]
	s_mov_b32 s2, 0x37c3f68c
	s_mov_b32 s3, 0xbfdc38aa
	v_add_f64 v[26:27], v[26:27], v[32:33]
	v_add_f64 v[34:35], v[34:35], v[32:33]
	;; [unrolled: 1-line block ×3, first 2 shown]
	v_fma_f64 v[32:33], v[4:5], s[2:3], v[36:37]
	v_fma_f64 v[30:31], v[4:5], s[2:3], v[30:31]
	;; [unrolled: 1-line block ×3, first 2 shown]
	v_add_f64 v[6:7], v[26:27], -v[32:33]
	v_add_f64 v[36:37], v[28:29], -v[30:31]
	v_add_f64 v[38:39], v[4:5], v[34:35]
	v_add_f64 v[4:5], v[34:35], -v[4:5]
	v_add_f64 v[28:29], v[30:31], v[28:29]
	v_add_f64 v[26:27], v[32:33], v[26:27]
	v_mul_lo_u16_e32 v30, 0xb6, v78
	v_lshlrev_b32_e32 v30, 3, v30
	v_add3_u32 v30, 0, v58, v30
	ds_write2_b64 v30, v[42:43], v[6:7] offset1:26
	ds_write2_b64 v30, v[36:37], v[38:39] offset0:52 offset1:78
	ds_write2_b64 v30, v[4:5], v[28:29] offset0:104 offset1:130
	ds_write_b64 v30, v[26:27] offset:1248
.LBB0_33:
	s_or_b64 exec, exec, s[4:5]
	s_waitcnt lgkmcnt(0)
	s_barrier
	s_and_saveexec_b64 s[2:3], s[0:1]
	s_cbranch_execz .LBB0_35
; %bb.34:
	v_mul_u32_u24_e32 v4, 10, v73
	v_lshlrev_b32_e32 v4, 4, v4
	global_load_dwordx4 v[26:29], v4, s[8:9] offset:2944
	global_load_dwordx4 v[30:33], v4, s[8:9] offset:2960
	;; [unrolled: 1-line block ×10, first 2 shown]
	ds_read2_b64 v[4:7], v154 offset1:182
	ds_read_b64 v[85:86], v154 offset:14560
	v_add_u32_e32 v66, 0x1600, v154
	v_add_u32_e32 v73, 0x2000, v154
	;; [unrolled: 1-line block ×4, first 2 shown]
	ds_read2_b64 v[66:69], v66 offset0:24 offset1:206
	ds_read2_b64 v[73:76], v73 offset0:68 offset1:250
	;; [unrolled: 1-line block ×4, first 2 shown]
	s_mov_b32 s18, 0xfd768dbf
	s_mov_b32 s19, 0xbfd207e7
	s_mov_b32 s22, 0xf8bb580b
	s_mov_b32 s14, 0x9bcd5057
	s_mov_b32 s23, 0x3fe14ced
	s_mov_b32 s15, 0xbfeeb42a
	s_mov_b32 s10, 0xbb3a28a1
	s_mov_b32 s16, 0x8764f0ba
	s_mov_b32 s11, 0xbfe82f19
	s_mov_b32 s17, 0x3feaeb8c
	s_mov_b32 s6, 0x43842ef
	s_mov_b32 s0, 0x7f775887
	s_mov_b32 s7, 0xbfefac9e
	s_mov_b32 s9, 0x3fed1bb4
	s_mov_b32 s8, 0x8eee2c13
	s_mov_b32 s1, 0xbfe4f49e
	s_mov_b32 s2, 0x640f44db
	s_mov_b32 s4, 0xd9c712b6
	s_mov_b32 s3, 0xbfc2375f
	s_mov_b32 s5, 0x3fda9628
	s_mov_b32 s25, 0x3fefac9e
	s_mov_b32 s24, s6
	s_mov_b32 s21, 0xbfe14ced
	s_mov_b32 s20, s22
	s_mov_b32 s27, 0x3fd207e7
	s_mov_b32 s26, s18
	s_movk_i32 s28, 0x2000
	s_waitcnt vmcnt(9)
	v_mul_f64 v[87:88], v[18:19], v[26:27]
	s_waitcnt vmcnt(8)
	v_mul_f64 v[89:90], v[20:21], v[30:31]
	v_mul_f64 v[20:21], v[20:21], v[32:33]
	s_waitcnt vmcnt(7)
	v_mul_f64 v[91:92], v[16:17], v[34:35]
	s_waitcnt vmcnt(5)
	;; [unrolled: 2-line block ×7, first 2 shown]
	v_mul_f64 v[105:106], v[24:25], v[62:63]
	v_mul_f64 v[107:108], v[2:3], v[60:61]
	;; [unrolled: 1-line block ×5, first 2 shown]
	s_waitcnt lgkmcnt(2)
	v_fma_f64 v[89:90], v[73:74], v[32:33], v[89:90]
	v_fma_f64 v[73:74], v[73:74], v[30:31], -v[20:21]
	v_fma_f64 v[60:61], v[6:7], v[60:61], v[103:104]
	v_fma_f64 v[2:3], v[85:86], v[64:65], v[105:106]
	s_waitcnt lgkmcnt(1)
	v_fma_f64 v[52:53], v[77:78], v[52:53], v[99:100]
	s_waitcnt lgkmcnt(0)
	v_fma_f64 v[56:57], v[83:84], v[56:57], v[101:102]
	v_fma_f64 v[58:59], v[6:7], v[58:59], -v[107:108]
	v_fma_f64 v[62:63], v[85:86], v[62:63], -v[24:25]
	v_mul_f64 v[93:94], v[22:23], v[38:39]
	v_mul_f64 v[16:17], v[16:17], v[36:37]
	;; [unrolled: 1-line block ×3, first 2 shown]
	v_add_f64 v[30:31], v[60:61], -v[2:3]
	v_mul_f64 v[12:13], v[12:13], v[48:49]
	v_fma_f64 v[36:37], v[66:67], v[36:37], v[91:92]
	v_fma_f64 v[44:45], v[79:80], v[44:45], v[95:96]
	;; [unrolled: 1-line block ×3, first 2 shown]
	v_fma_f64 v[50:51], v[77:78], v[50:51], -v[8:9]
	v_fma_f64 v[54:55], v[83:84], v[54:55], -v[14:15]
	v_add_f64 v[83:84], v[52:53], -v[56:57]
	v_add_f64 v[91:92], v[58:59], v[62:63]
	v_add_f64 v[107:108], v[58:59], -v[62:63]
	v_mul_f64 v[6:7], v[30:31], s[18:19]
	v_mul_f64 v[18:19], v[18:19], v[28:29]
	;; [unrolled: 1-line block ×3, first 2 shown]
	v_fma_f64 v[87:88], v[68:69], v[28:29], v[87:88]
	v_fma_f64 v[40:41], v[75:76], v[40:41], v[93:94]
	v_fma_f64 v[34:35], v[66:67], v[34:35], -v[16:17]
	v_fma_f64 v[42:43], v[79:80], v[42:43], -v[10:11]
	;; [unrolled: 1-line block ×3, first 2 shown]
	v_add_f64 v[79:80], v[44:45], -v[48:49]
	v_add_f64 v[85:86], v[50:51], v[54:55]
	v_add_f64 v[109:110], v[50:51], -v[54:55]
	v_add_f64 v[111:112], v[60:61], v[2:3]
	v_mul_f64 v[14:15], v[83:84], s[22:23]
	v_mul_f64 v[16:17], v[107:108], s[18:19]
	v_fma_f64 v[20:21], v[91:92], s[14:15], v[6:7]
	v_fma_f64 v[68:69], v[68:69], v[26:27], -v[18:19]
	v_fma_f64 v[38:39], v[75:76], v[38:39], -v[22:23]
	v_add_f64 v[64:65], v[87:88], -v[89:90]
	v_add_f64 v[75:76], v[36:37], -v[40:41]
	v_add_f64 v[81:82], v[42:43], v[46:47]
	v_add_f64 v[103:104], v[42:43], -v[46:47]
	v_add_f64 v[105:106], v[52:53], v[56:57]
	v_mul_f64 v[12:13], v[79:80], s[10:11]
	v_mul_f64 v[26:27], v[109:110], s[22:23]
	v_fma_f64 v[32:33], v[85:86], s[16:17], v[14:15]
	v_fma_f64 v[113:114], v[111:112], s[14:15], -v[16:17]
	v_fma_f64 v[6:7], v[91:92], s[14:15], -v[6:7]
	v_add_f64 v[20:21], v[4:5], v[20:21]
	v_add_f64 v[66:67], v[68:69], v[73:74]
	;; [unrolled: 1-line block ×4, first 2 shown]
	v_mul_f64 v[8:9], v[64:65], s[6:7]
	v_mul_f64 v[10:11], v[75:76], s[8:9]
	;; [unrolled: 1-line block ×3, first 2 shown]
	v_fma_f64 v[119:120], v[81:82], s[0:1], v[12:13]
	v_fma_f64 v[121:122], v[105:106], s[16:17], -v[26:27]
	v_fma_f64 v[14:15], v[85:86], s[16:17], -v[14:15]
	v_add_f64 v[113:114], v[0:1], v[113:114]
	v_add_f64 v[6:7], v[4:5], v[6:7]
	;; [unrolled: 1-line block ×3, first 2 shown]
	v_add_f64 v[99:100], v[34:35], -v[38:39]
	v_mul_f64 v[115:116], v[30:31], s[10:11]
	v_fma_f64 v[123:124], v[66:67], s[2:3], v[8:9]
	v_fma_f64 v[125:126], v[77:78], s[4:5], v[10:11]
	v_fma_f64 v[127:128], v[101:102], s[0:1], -v[24:25]
	v_fma_f64 v[12:13], v[81:82], s[0:1], -v[12:13]
	v_add_f64 v[113:114], v[121:122], v[113:114]
	v_add_f64 v[6:7], v[14:15], v[6:7]
	;; [unrolled: 1-line block ×3, first 2 shown]
	v_fma_f64 v[121:122], v[66:67], s[2:3], -v[8:9]
	v_fma_f64 v[8:9], v[111:112], s[14:15], v[16:17]
	v_add_f64 v[97:98], v[36:37], v[40:41]
	v_mul_f64 v[22:23], v[99:100], s[8:9]
	v_mul_f64 v[28:29], v[83:84], s[24:25]
	;; [unrolled: 1-line block ×3, first 2 shown]
	v_fma_f64 v[10:11], v[77:78], s[4:5], -v[10:11]
	v_add_f64 v[16:17], v[127:128], v[113:114]
	v_add_f64 v[6:7], v[12:13], v[6:7]
	;; [unrolled: 1-line block ×3, first 2 shown]
	v_fma_f64 v[14:15], v[101:102], s[0:1], v[24:25]
	v_fma_f64 v[24:25], v[105:106], s[16:17], v[26:27]
	;; [unrolled: 1-line block ×3, first 2 shown]
	v_add_f64 v[113:114], v[0:1], v[8:9]
	v_mul_f64 v[117:118], v[109:110], s[24:25]
	v_fma_f64 v[119:120], v[97:98], s[4:5], -v[22:23]
	v_fma_f64 v[125:126], v[111:112], s[0:1], -v[32:33]
	v_add_f64 v[10:11], v[10:11], v[6:7]
	v_add_f64 v[8:9], v[123:124], v[12:13]
	v_mul_f64 v[6:7], v[79:80], s[20:21]
	v_fma_f64 v[12:13], v[85:86], s[2:3], v[28:29]
	v_add_f64 v[26:27], v[4:5], v[26:27]
	v_add_f64 v[24:25], v[24:25], v[113:114]
	v_add_f64 v[95:96], v[68:69], -v[73:74]
	v_add_f64 v[16:17], v[119:120], v[16:17]
	v_mul_f64 v[113:114], v[103:104], s[20:21]
	v_fma_f64 v[119:120], v[105:106], s[2:3], -v[117:118]
	v_add_f64 v[123:124], v[0:1], v[125:126]
	v_mul_f64 v[125:126], v[75:76], s[18:19]
	v_fma_f64 v[127:128], v[81:82], s[16:17], v[6:7]
	v_add_f64 v[12:13], v[12:13], v[26:27]
	v_add_f64 v[14:15], v[14:15], v[24:25]
	v_fma_f64 v[24:25], v[91:92], s[0:1], -v[115:116]
	v_add_f64 v[93:94], v[87:88], v[89:90]
	v_mul_f64 v[18:19], v[95:96], s[6:7]
	v_fma_f64 v[22:23], v[97:98], s[4:5], v[22:23]
	v_mul_f64 v[26:27], v[99:100], s[18:19]
	v_fma_f64 v[115:116], v[101:102], s[16:17], -v[113:114]
	v_add_f64 v[119:120], v[119:120], v[123:124]
	v_mul_f64 v[123:124], v[64:65], s[8:9]
	v_fma_f64 v[129:130], v[77:78], s[14:15], v[125:126]
	v_add_f64 v[12:13], v[127:128], v[12:13]
	v_fma_f64 v[28:29], v[85:86], s[2:3], -v[28:29]
	v_add_f64 v[24:25], v[4:5], v[24:25]
	v_fma_f64 v[20:21], v[93:94], s[2:3], -v[18:19]
	v_mul_f64 v[127:128], v[95:96], s[8:9]
	v_fma_f64 v[131:132], v[97:98], s[14:15], -v[26:27]
	v_add_f64 v[115:116], v[115:116], v[119:120]
	v_add_f64 v[14:15], v[22:23], v[14:15]
	v_fma_f64 v[22:23], v[66:67], s[4:5], v[123:124]
	v_fma_f64 v[119:120], v[81:82], s[16:17], -v[6:7]
	v_add_f64 v[24:25], v[28:29], v[24:25]
	v_add_f64 v[28:29], v[129:130], v[12:13]
	v_fma_f64 v[18:19], v[93:94], s[2:3], v[18:19]
	v_fma_f64 v[129:130], v[93:94], s[4:5], -v[127:128]
	v_add_f64 v[115:116], v[131:132], v[115:116]
	v_add_f64 v[6:7], v[20:21], v[16:17]
	v_fma_f64 v[20:21], v[77:78], s[14:15], -v[125:126]
	v_fma_f64 v[32:33], v[111:112], s[0:1], v[32:33]
	v_add_f64 v[24:25], v[119:120], v[24:25]
	v_add_f64 v[16:17], v[22:23], v[28:29]
	v_mul_f64 v[28:29], v[30:31], s[6:7]
	v_add_f64 v[12:13], v[121:122], v[10:11]
	v_add_f64 v[10:11], v[18:19], v[14:15]
	;; [unrolled: 1-line block ×3, first 2 shown]
	v_fma_f64 v[18:19], v[66:67], s[4:5], -v[123:124]
	v_fma_f64 v[22:23], v[105:106], s[2:3], v[117:118]
	v_add_f64 v[32:33], v[0:1], v[32:33]
	v_add_f64 v[20:21], v[20:21], v[24:25]
	v_mul_f64 v[24:25], v[83:84], s[26:27]
	v_mul_f64 v[115:116], v[107:108], s[6:7]
	v_fma_f64 v[117:118], v[91:92], s[2:3], v[28:29]
	v_fma_f64 v[113:114], v[101:102], s[16:17], v[113:114]
	v_mul_f64 v[119:120], v[109:110], s[26:27]
	v_mul_f64 v[123:124], v[75:76], s[20:21]
	v_add_f64 v[22:23], v[22:23], v[32:33]
	v_add_f64 v[20:21], v[18:19], v[20:21]
	v_fma_f64 v[18:19], v[97:98], s[14:15], v[26:27]
	v_mul_f64 v[26:27], v[79:80], s[8:9]
	v_fma_f64 v[32:33], v[85:86], s[14:15], v[24:25]
	v_fma_f64 v[121:122], v[111:112], s[2:3], -v[115:116]
	v_add_f64 v[117:118], v[4:5], v[117:118]
	v_fma_f64 v[129:130], v[105:106], s[14:15], -v[119:120]
	v_add_f64 v[22:23], v[113:114], v[22:23]
	v_fma_f64 v[113:114], v[93:94], s[4:5], v[127:128]
	v_mul_f64 v[127:128], v[103:104], s[8:9]
	v_fma_f64 v[125:126], v[81:82], s[4:5], v[26:27]
	v_fma_f64 v[28:29], v[91:92], s[2:3], -v[28:29]
	v_add_f64 v[121:122], v[0:1], v[121:122]
	v_add_f64 v[32:33], v[32:33], v[117:118]
	v_fma_f64 v[117:118], v[77:78], s[16:17], v[123:124]
	v_mul_f64 v[131:132], v[99:100], s[20:21]
	v_fma_f64 v[24:25], v[85:86], s[14:15], -v[24:25]
	v_fma_f64 v[133:134], v[101:102], s[4:5], -v[127:128]
	s_mov_b32 s9, 0xbfed1bb4
	v_add_f64 v[28:29], v[4:5], v[28:29]
	v_add_f64 v[121:122], v[129:130], v[121:122]
	;; [unrolled: 1-line block ×3, first 2 shown]
	v_fma_f64 v[26:27], v[81:82], s[4:5], -v[26:27]
	v_fma_f64 v[129:130], v[97:98], s[16:17], -v[131:132]
	v_fma_f64 v[115:116], v[111:112], s[2:3], v[115:116]
	v_mul_f64 v[137:138], v[109:110], s[10:11]
	v_fma_f64 v[119:120], v[105:106], s[14:15], v[119:120]
	v_add_f64 v[24:25], v[24:25], v[28:29]
	v_add_f64 v[121:122], v[133:134], v[121:122]
	;; [unrolled: 1-line block ×3, first 2 shown]
	v_mul_f64 v[117:118], v[30:31], s[8:9]
	v_mul_f64 v[133:134], v[107:108], s[8:9]
	v_add_f64 v[115:116], v[0:1], v[115:116]
	v_add_f64 v[58:59], v[4:5], v[58:59]
	v_add_f64 v[60:61], v[0:1], v[60:61]
	v_add_f64 v[24:25], v[26:27], v[24:25]
	v_add_f64 v[121:122], v[129:130], v[121:122]
	v_mul_f64 v[129:130], v[83:84], s[10:11]
	v_fma_f64 v[135:136], v[91:92], s[4:5], v[117:118]
	v_fma_f64 v[26:27], v[111:112], s[4:5], -v[133:134]
	v_add_f64 v[18:19], v[18:19], v[22:23]
	v_mul_f64 v[22:23], v[64:65], s[10:11]
	v_mul_f64 v[139:140], v[79:80], s[26:27]
	;; [unrolled: 1-line block ×3, first 2 shown]
	v_fma_f64 v[145:146], v[105:106], s[0:1], -v[137:138]
	v_fma_f64 v[141:142], v[85:86], s[0:1], v[129:130]
	v_add_f64 v[135:136], v[4:5], v[135:136]
	v_add_f64 v[26:27], v[0:1], v[26:27]
	v_fma_f64 v[127:128], v[101:102], s[4:5], v[127:128]
	v_add_f64 v[115:116], v[119:120], v[115:116]
	v_add_f64 v[50:51], v[50:51], v[58:59]
	;; [unrolled: 1-line block ×4, first 2 shown]
	v_fma_f64 v[113:114], v[66:67], s[0:1], v[22:23]
	v_mul_f64 v[125:126], v[95:96], s[10:11]
	v_fma_f64 v[123:124], v[77:78], s[16:17], -v[123:124]
	v_mul_f64 v[119:120], v[75:76], s[24:25]
	v_fma_f64 v[147:148], v[81:82], s[14:15], v[139:140]
	v_add_f64 v[135:136], v[141:142], v[135:136]
	v_mul_f64 v[141:142], v[99:100], s[24:25]
	v_fma_f64 v[149:150], v[101:102], s[14:15], -v[143:144]
	v_add_f64 v[26:27], v[145:146], v[26:27]
	v_fma_f64 v[131:132], v[97:98], s[16:17], v[131:132]
	v_add_f64 v[115:116], v[127:128], v[115:116]
	v_add_f64 v[42:43], v[42:43], v[50:51]
	;; [unrolled: 1-line block ×3, first 2 shown]
	v_fma_f64 v[28:29], v[93:94], s[0:1], -v[125:126]
	v_mul_f64 v[127:128], v[64:65], s[22:23]
	v_fma_f64 v[145:146], v[77:78], s[2:3], v[119:120]
	v_add_f64 v[135:136], v[147:148], v[135:136]
	v_fma_f64 v[151:152], v[97:98], s[2:3], -v[141:142]
	v_add_f64 v[26:27], v[149:150], v[26:27]
	v_add_f64 v[123:124], v[123:124], v[24:25]
	v_fma_f64 v[125:126], v[93:94], s[0:1], v[125:126]
	v_add_f64 v[115:116], v[131:132], v[115:116]
	v_add_f64 v[24:25], v[113:114], v[32:33]
	v_mul_f64 v[113:114], v[30:31], s[20:21]
	v_mul_f64 v[52:53], v[107:108], s[20:21]
	v_add_f64 v[34:35], v[34:35], v[42:43]
	v_add_f64 v[36:37], v[36:37], v[44:45]
	v_fma_f64 v[131:132], v[66:67], s[16:17], v[127:128]
	v_add_f64 v[135:136], v[145:146], v[135:136]
	v_add_f64 v[151:152], v[151:152], v[26:27]
	;; [unrolled: 1-line block ×3, first 2 shown]
	v_fma_f64 v[115:116], v[91:92], s[4:5], -v[117:118]
	v_mul_f64 v[83:84], v[83:84], s[8:9]
	v_fma_f64 v[125:126], v[91:92], s[16:17], v[113:114]
	v_mul_f64 v[42:43], v[109:110], s[8:9]
	v_fma_f64 v[44:45], v[111:112], s[16:17], -v[52:53]
	v_fma_f64 v[91:92], v[91:92], s[16:17], -v[113:114]
	v_add_f64 v[34:35], v[68:69], v[34:35]
	v_add_f64 v[36:37], v[87:88], v[36:37]
	v_fma_f64 v[149:150], v[66:67], s[0:1], -v[22:23]
	v_add_f64 v[22:23], v[28:29], v[121:122]
	v_fma_f64 v[121:122], v[111:112], s[4:5], v[133:134]
	v_fma_f64 v[52:53], v[111:112], s[16:17], v[52:53]
	v_add_f64 v[32:33], v[131:132], v[135:136]
	v_add_f64 v[115:116], v[4:5], v[115:116]
	v_mul_f64 v[79:80], v[79:80], s[6:7]
	v_fma_f64 v[131:132], v[85:86], s[4:5], v[83:84]
	v_add_f64 v[125:126], v[4:5], v[125:126]
	v_fma_f64 v[68:69], v[105:106], s[4:5], -v[42:43]
	v_add_f64 v[44:45], v[0:1], v[44:45]
	v_fma_f64 v[83:84], v[85:86], s[4:5], -v[83:84]
	v_add_f64 v[4:5], v[4:5], v[91:92]
	v_add_f64 v[34:35], v[73:74], v[34:35]
	;; [unrolled: 1-line block ×4, first 2 shown]
	v_mul_f64 v[103:104], v[103:104], s[6:7]
	v_fma_f64 v[42:43], v[105:106], s[4:5], v[42:43]
	v_add_f64 v[0:1], v[0:1], v[52:53]
	v_add_f64 v[28:29], v[149:150], v[123:124]
	v_fma_f64 v[123:124], v[85:86], s[0:1], -v[129:130]
	v_fma_f64 v[129:130], v[105:106], s[0:1], v[137:138]
	v_mul_f64 v[75:76], v[75:76], s[10:11]
	v_add_f64 v[44:45], v[68:69], v[44:45]
	v_fma_f64 v[68:69], v[81:82], s[2:3], -v[79:80]
	v_add_f64 v[4:5], v[83:84], v[4:5]
	v_add_f64 v[34:35], v[38:39], v[34:35]
	;; [unrolled: 1-line block ×3, first 2 shown]
	v_mul_f64 v[99:100], v[99:100], s[10:11]
	v_fma_f64 v[52:53], v[101:102], s[2:3], -v[103:104]
	v_fma_f64 v[73:74], v[101:102], s[2:3], v[103:104]
	v_add_f64 v[0:1], v[42:43], v[0:1]
	v_fma_f64 v[117:118], v[66:67], s[16:17], -v[127:128]
	v_fma_f64 v[127:128], v[81:82], s[14:15], -v[139:140]
	v_add_f64 v[115:116], v[123:124], v[115:116]
	v_fma_f64 v[123:124], v[101:102], s[14:15], v[143:144]
	v_add_f64 v[121:122], v[129:130], v[121:122]
	v_mul_f64 v[64:65], v[64:65], s[18:19]
	v_fma_f64 v[42:43], v[77:78], s[0:1], -v[75:76]
	v_add_f64 v[4:5], v[68:69], v[4:5]
	v_add_f64 v[34:35], v[46:47], v[34:35]
	v_add_f64 v[36:37], v[48:49], v[36:37]
	v_mul_f64 v[147:148], v[95:96], s[22:23]
	v_mul_f64 v[95:96], v[95:96], s[18:19]
	v_add_f64 v[40:41], v[52:53], v[44:45]
	v_fma_f64 v[44:45], v[97:98], s[0:1], v[99:100]
	v_add_f64 v[0:1], v[73:74], v[0:1]
	v_fma_f64 v[119:120], v[77:78], s[2:3], -v[119:120]
	v_add_f64 v[115:116], v[127:128], v[115:116]
	v_fma_f64 v[58:59], v[97:98], s[2:3], v[141:142]
	v_add_f64 v[60:61], v[123:124], v[121:122]
	v_fma_f64 v[38:39], v[97:98], s[0:1], -v[99:100]
	v_fma_f64 v[129:130], v[81:82], s[2:3], v[79:80]
	v_add_f64 v[125:126], v[131:132], v[125:126]
	v_fma_f64 v[48:49], v[66:67], s[14:15], -v[64:65]
	v_add_f64 v[4:5], v[42:43], v[4:5]
	v_add_f64 v[52:53], v[54:55], v[34:35]
	;; [unrolled: 1-line block ×3, first 2 shown]
	v_fma_f64 v[42:43], v[93:94], s[14:15], v[95:96]
	v_add_f64 v[0:1], v[44:45], v[0:1]
	v_add_f64 v[115:116], v[119:120], v[115:116]
	v_fma_f64 v[50:51], v[93:94], s[16:17], v[147:148]
	v_add_f64 v[58:59], v[58:59], v[60:61]
	v_fma_f64 v[46:47], v[93:94], s[14:15], -v[95:96]
	v_add_f64 v[38:39], v[38:39], v[40:41]
	v_fma_f64 v[121:122], v[77:78], s[0:1], v[75:76]
	v_add_f64 v[123:124], v[129:130], v[125:126]
	v_add_f64 v[44:45], v[48:49], v[4:5]
	;; [unrolled: 1-line block ×8, first 2 shown]
	v_mov_b32_e32 v73, 0
	v_mov_b32_e32 v0, s13
	v_add_co_u32_e32 v46, vcc, s12, v70
	v_addc_co_u32_e32 v47, vcc, v0, v71, vcc
	v_lshlrev_b64 v[0:1], 4, v[72:73]
	v_fma_f64 v[145:146], v[93:94], s[16:17], -v[147:148]
	v_fma_f64 v[60:61], v[66:67], s[14:15], v[64:65]
	v_add_f64 v[107:108], v[121:122], v[123:124]
	v_add_co_u32_e32 v0, vcc, v46, v0
	v_addc_co_u32_e32 v1, vcc, v47, v1, vcc
	s_movk_i32 s0, 0x1000
	global_store_dwordx4 v[0:1], v[2:5], off
	global_store_dwordx4 v[0:1], v[42:45], off offset:2912
	v_add_co_u32_e32 v2, vcc, s0, v0
	v_addc_co_u32_e32 v3, vcc, 0, v1, vcc
	global_store_dwordx4 v[2:3], v[34:37], off offset:1728
	v_add_co_u32_e32 v2, vcc, s28, v0
	v_addc_co_u32_e32 v3, vcc, 0, v1, vcc
	s_movk_i32 s0, 0x3000
	global_store_dwordx4 v[2:3], v[26:29], off offset:544
	global_store_dwordx4 v[2:3], v[18:21], off offset:3456
	v_add_co_u32_e32 v2, vcc, s0, v0
	v_addc_co_u32_e32 v3, vcc, 0, v1, vcc
	s_movk_i32 s0, 0x4000
	v_add_f64 v[30:31], v[145:146], v[151:152]
	v_add_f64 v[40:41], v[60:61], v[107:108]
	global_store_dwordx4 v[2:3], v[10:13], off offset:2272
	v_add_co_u32_e32 v2, vcc, s0, v0
	v_addc_co_u32_e32 v3, vcc, 0, v1, vcc
	s_movk_i32 s0, 0x5000
	global_store_dwordx4 v[2:3], v[6:9], off offset:1088
	global_store_dwordx4 v[2:3], v[14:17], off offset:4000
	v_add_co_u32_e32 v2, vcc, s0, v0
	v_addc_co_u32_e32 v3, vcc, 0, v1, vcc
	global_store_dwordx4 v[2:3], v[22:25], off offset:2816
	v_add_co_u32_e32 v2, vcc, 0x6000, v0
	v_addc_co_u32_e32 v3, vcc, 0, v1, vcc
	v_add_co_u32_e32 v0, vcc, 0x7000, v0
	v_addc_co_u32_e32 v1, vcc, 0, v1, vcc
	global_store_dwordx4 v[2:3], v[30:33], off offset:1632
	global_store_dwordx4 v[0:1], v[38:41], off offset:448
.LBB0_35:
	s_endpgm
	.section	.rodata,"a",@progbits
	.p2align	6, 0x0
	.amdhsa_kernel fft_rtc_back_len2002_factors_2_13_7_11_wgs_182_tpt_182_halfLds_dp_ip_CI_unitstride_sbrr_dirReg
		.amdhsa_group_segment_fixed_size 0
		.amdhsa_private_segment_fixed_size 0
		.amdhsa_kernarg_size 88
		.amdhsa_user_sgpr_count 6
		.amdhsa_user_sgpr_private_segment_buffer 1
		.amdhsa_user_sgpr_dispatch_ptr 0
		.amdhsa_user_sgpr_queue_ptr 0
		.amdhsa_user_sgpr_kernarg_segment_ptr 1
		.amdhsa_user_sgpr_dispatch_id 0
		.amdhsa_user_sgpr_flat_scratch_init 0
		.amdhsa_user_sgpr_private_segment_size 0
		.amdhsa_uses_dynamic_stack 0
		.amdhsa_system_sgpr_private_segment_wavefront_offset 0
		.amdhsa_system_sgpr_workgroup_id_x 1
		.amdhsa_system_sgpr_workgroup_id_y 0
		.amdhsa_system_sgpr_workgroup_id_z 0
		.amdhsa_system_sgpr_workgroup_info 0
		.amdhsa_system_vgpr_workitem_id 0
		.amdhsa_next_free_vgpr 202
		.amdhsa_next_free_sgpr 46
		.amdhsa_reserve_vcc 1
		.amdhsa_reserve_flat_scratch 0
		.amdhsa_float_round_mode_32 0
		.amdhsa_float_round_mode_16_64 0
		.amdhsa_float_denorm_mode_32 3
		.amdhsa_float_denorm_mode_16_64 3
		.amdhsa_dx10_clamp 1
		.amdhsa_ieee_mode 1
		.amdhsa_fp16_overflow 0
		.amdhsa_exception_fp_ieee_invalid_op 0
		.amdhsa_exception_fp_denorm_src 0
		.amdhsa_exception_fp_ieee_div_zero 0
		.amdhsa_exception_fp_ieee_overflow 0
		.amdhsa_exception_fp_ieee_underflow 0
		.amdhsa_exception_fp_ieee_inexact 0
		.amdhsa_exception_int_div_zero 0
	.end_amdhsa_kernel
	.text
.Lfunc_end0:
	.size	fft_rtc_back_len2002_factors_2_13_7_11_wgs_182_tpt_182_halfLds_dp_ip_CI_unitstride_sbrr_dirReg, .Lfunc_end0-fft_rtc_back_len2002_factors_2_13_7_11_wgs_182_tpt_182_halfLds_dp_ip_CI_unitstride_sbrr_dirReg
                                        ; -- End function
	.section	.AMDGPU.csdata,"",@progbits
; Kernel info:
; codeLenInByte = 13096
; NumSgprs: 50
; NumVgprs: 202
; ScratchSize: 0
; MemoryBound: 1
; FloatMode: 240
; IeeeMode: 1
; LDSByteSize: 0 bytes/workgroup (compile time only)
; SGPRBlocks: 6
; VGPRBlocks: 50
; NumSGPRsForWavesPerEU: 50
; NumVGPRsForWavesPerEU: 202
; Occupancy: 1
; WaveLimiterHint : 1
; COMPUTE_PGM_RSRC2:SCRATCH_EN: 0
; COMPUTE_PGM_RSRC2:USER_SGPR: 6
; COMPUTE_PGM_RSRC2:TRAP_HANDLER: 0
; COMPUTE_PGM_RSRC2:TGID_X_EN: 1
; COMPUTE_PGM_RSRC2:TGID_Y_EN: 0
; COMPUTE_PGM_RSRC2:TGID_Z_EN: 0
; COMPUTE_PGM_RSRC2:TIDIG_COMP_CNT: 0
	.type	__hip_cuid_44cdbccc0bc307cd,@object ; @__hip_cuid_44cdbccc0bc307cd
	.section	.bss,"aw",@nobits
	.globl	__hip_cuid_44cdbccc0bc307cd
__hip_cuid_44cdbccc0bc307cd:
	.byte	0                               ; 0x0
	.size	__hip_cuid_44cdbccc0bc307cd, 1

	.ident	"AMD clang version 19.0.0git (https://github.com/RadeonOpenCompute/llvm-project roc-6.4.0 25133 c7fe45cf4b819c5991fe208aaa96edf142730f1d)"
	.section	".note.GNU-stack","",@progbits
	.addrsig
	.addrsig_sym __hip_cuid_44cdbccc0bc307cd
	.amdgpu_metadata
---
amdhsa.kernels:
  - .args:
      - .actual_access:  read_only
        .address_space:  global
        .offset:         0
        .size:           8
        .value_kind:     global_buffer
      - .offset:         8
        .size:           8
        .value_kind:     by_value
      - .actual_access:  read_only
        .address_space:  global
        .offset:         16
        .size:           8
        .value_kind:     global_buffer
      - .actual_access:  read_only
        .address_space:  global
        .offset:         24
        .size:           8
        .value_kind:     global_buffer
      - .offset:         32
        .size:           8
        .value_kind:     by_value
      - .actual_access:  read_only
        .address_space:  global
        .offset:         40
        .size:           8
        .value_kind:     global_buffer
      - .actual_access:  read_only
        .address_space:  global
        .offset:         48
        .size:           8
        .value_kind:     global_buffer
      - .offset:         56
        .size:           4
        .value_kind:     by_value
      - .actual_access:  read_only
        .address_space:  global
        .offset:         64
        .size:           8
        .value_kind:     global_buffer
      - .actual_access:  read_only
        .address_space:  global
        .offset:         72
        .size:           8
        .value_kind:     global_buffer
      - .address_space:  global
        .offset:         80
        .size:           8
        .value_kind:     global_buffer
    .group_segment_fixed_size: 0
    .kernarg_segment_align: 8
    .kernarg_segment_size: 88
    .language:       OpenCL C
    .language_version:
      - 2
      - 0
    .max_flat_workgroup_size: 182
    .name:           fft_rtc_back_len2002_factors_2_13_7_11_wgs_182_tpt_182_halfLds_dp_ip_CI_unitstride_sbrr_dirReg
    .private_segment_fixed_size: 0
    .sgpr_count:     50
    .sgpr_spill_count: 0
    .symbol:         fft_rtc_back_len2002_factors_2_13_7_11_wgs_182_tpt_182_halfLds_dp_ip_CI_unitstride_sbrr_dirReg.kd
    .uniform_work_group_size: 1
    .uses_dynamic_stack: false
    .vgpr_count:     202
    .vgpr_spill_count: 0
    .wavefront_size: 64
amdhsa.target:   amdgcn-amd-amdhsa--gfx906
amdhsa.version:
  - 1
  - 2
...

	.end_amdgpu_metadata
